;; amdgpu-corpus repo=ROCm/rocFFT kind=compiled arch=gfx1201 opt=O3
	.text
	.amdgcn_target "amdgcn-amd-amdhsa--gfx1201"
	.amdhsa_code_object_version 6
	.protected	bluestein_single_back_len1275_dim1_half_op_CI_CI ; -- Begin function bluestein_single_back_len1275_dim1_half_op_CI_CI
	.globl	bluestein_single_back_len1275_dim1_half_op_CI_CI
	.p2align	8
	.type	bluestein_single_back_len1275_dim1_half_op_CI_CI,@function
bluestein_single_back_len1275_dim1_half_op_CI_CI: ; @bluestein_single_back_len1275_dim1_half_op_CI_CI
; %bb.0:
	s_load_b128 s[8:11], s[0:1], 0x28
	v_mul_u32_u24_e32 v1, 0x304, v0
	s_mov_b32 s2, exec_lo
	s_delay_alu instid0(VALU_DEP_1) | instskip(NEXT) | instid1(VALU_DEP_1)
	v_lshrrev_b32_e32 v1, 16, v1
	v_mad_co_u64_u32 v[24:25], null, ttmp9, 3, v[1:2]
	v_mov_b32_e32 v25, 0
                                        ; kill: def $vgpr2 killed $sgpr0 killed $exec
	s_wait_kmcnt 0x0
	s_delay_alu instid0(VALU_DEP_1)
	v_cmpx_gt_u64_e64 s[8:9], v[24:25]
	s_cbranch_execz .LBB0_15
; %bb.1:
	v_mul_hi_u32 v2, 0xaaaaaaab, v24
	s_clause 0x1
	s_load_b64 s[8:9], s[0:1], 0x0
	s_load_b64 s[12:13], s[0:1], 0x38
	v_mul_lo_u16 v1, 0x55, v1
	s_delay_alu instid0(VALU_DEP_1) | instskip(NEXT) | instid1(VALU_DEP_3)
	v_sub_nc_u16 v0, v0, v1
	v_lshrrev_b32_e32 v2, 1, v2
	s_delay_alu instid0(VALU_DEP_2) | instskip(NEXT) | instid1(VALU_DEP_2)
	v_and_b32_e32 v52, 0xffff, v0
	v_lshl_add_u32 v2, v2, 1, v2
	v_cmp_gt_u16_e32 vcc_lo, 0x4b, v0
	s_delay_alu instid0(VALU_DEP_3) | instskip(NEXT) | instid1(VALU_DEP_3)
	v_lshlrev_b32_e32 v51, 2, v52
	v_sub_nc_u32_e32 v1, v24, v2
	s_delay_alu instid0(VALU_DEP_1) | instskip(NEXT) | instid1(VALU_DEP_1)
	v_mul_u32_u24_e32 v16, 0x4fb, v1
	v_lshlrev_b32_e32 v54, 2, v16
	s_and_saveexec_b32 s3, vcc_lo
	s_cbranch_execz .LBB0_3
; %bb.2:
	s_load_b64 s[4:5], s[0:1], 0x18
	s_wait_kmcnt 0x0
	s_load_b128 s[4:7], s[4:5], 0x0
	s_wait_kmcnt 0x0
	v_mad_co_u64_u32 v[0:1], null, s6, v24, 0
	v_mad_co_u64_u32 v[2:3], null, s4, v52, 0
	s_delay_alu instid0(VALU_DEP_1) | instskip(NEXT) | instid1(VALU_DEP_1)
	v_mad_co_u64_u32 v[4:5], null, s7, v24, v[1:2]
	v_mad_co_u64_u32 v[5:6], null, s5, v52, v[3:4]
	v_mov_b32_e32 v1, v4
	s_mul_u64 s[4:5], s[4:5], 0x12c
	s_delay_alu instid0(VALU_DEP_1) | instskip(NEXT) | instid1(VALU_DEP_3)
	v_lshlrev_b64_e32 v[0:1], 2, v[0:1]
	v_mov_b32_e32 v3, v5
	s_clause 0xe
	global_load_b32 v4, v51, s[8:9]
	global_load_b32 v5, v51, s[8:9] offset:300
	global_load_b32 v6, v51, s[8:9] offset:600
	;; [unrolled: 1-line block ×14, first 2 shown]
	v_lshlrev_b64_e32 v[2:3], 2, v[2:3]
	v_add_co_u32 v0, s2, s10, v0
	s_delay_alu instid0(VALU_DEP_1) | instskip(NEXT) | instid1(VALU_DEP_2)
	v_add_co_ci_u32_e64 v1, s2, s11, v1, s2
	v_add_co_u32 v0, s2, v0, v2
	s_wait_alu 0xf1ff
	s_delay_alu instid0(VALU_DEP_2) | instskip(SKIP_1) | instid1(VALU_DEP_2)
	v_add_co_ci_u32_e64 v1, s2, v1, v3, s2
	s_wait_alu 0xfffe
	v_add_co_u32 v2, s2, v0, s4
	s_wait_alu 0xf1ff
	s_delay_alu instid0(VALU_DEP_2)
	v_add_co_ci_u32_e64 v3, s2, s5, v1, s2
	global_load_b32 v20, v[0:1], off
	v_add_co_u32 v0, s2, v2, s4
	s_wait_alu 0xf1ff
	v_add_co_ci_u32_e64 v1, s2, s5, v3, s2
	global_load_b32 v21, v51, s[8:9] offset:4500
	global_load_b32 v22, v[2:3], off
	global_load_b32 v23, v51, s[8:9] offset:4800
	global_load_b32 v25, v[0:1], off
	v_add_co_u32 v0, s2, v0, s4
	s_wait_alu 0xf1ff
	v_add_co_ci_u32_e64 v1, s2, s5, v1, s2
	s_delay_alu instid0(VALU_DEP_2) | instskip(SKIP_1) | instid1(VALU_DEP_2)
	v_add_co_u32 v2, s2, v0, s4
	s_wait_alu 0xf1ff
	v_add_co_ci_u32_e64 v3, s2, s5, v1, s2
	s_clause 0x1
	global_load_b32 v26, v[0:1], off
	global_load_b32 v27, v[2:3], off
	v_add_co_u32 v0, s2, v2, s4
	s_wait_alu 0xf1ff
	v_add_co_ci_u32_e64 v1, s2, s5, v3, s2
	s_delay_alu instid0(VALU_DEP_2) | instskip(SKIP_1) | instid1(VALU_DEP_2)
	v_add_co_u32 v2, s2, v0, s4
	s_wait_alu 0xf1ff
	v_add_co_ci_u32_e64 v3, s2, s5, v1, s2
	global_load_b32 v28, v[0:1], off
	v_add_co_u32 v0, s2, v2, s4
	s_wait_alu 0xf1ff
	v_add_co_ci_u32_e64 v1, s2, s5, v3, s2
	global_load_b32 v29, v[2:3], off
	global_load_b32 v30, v[0:1], off
	v_add_co_u32 v0, s2, v0, s4
	s_wait_alu 0xf1ff
	v_add_co_ci_u32_e64 v1, s2, s5, v1, s2
	s_delay_alu instid0(VALU_DEP_2) | instskip(SKIP_1) | instid1(VALU_DEP_2)
	v_add_co_u32 v2, s2, v0, s4
	s_wait_alu 0xf1ff
	v_add_co_ci_u32_e64 v3, s2, s5, v1, s2
	global_load_b32 v31, v[0:1], off
	v_add_co_u32 v0, s2, v2, s4
	s_wait_alu 0xf1ff
	v_add_co_ci_u32_e64 v1, s2, s5, v3, s2
	;; [unrolled: 13-line block ×3, first 2 shown]
	global_load_b32 v35, v[2:3], off
	v_add_co_u32 v2, s2, v0, s4
	s_wait_alu 0xf1ff
	v_add_co_ci_u32_e64 v3, s2, s5, v1, s2
	global_load_b32 v36, v[0:1], off
	v_add_co_u32 v0, s2, v2, s4
	s_wait_alu 0xf1ff
	v_add_co_ci_u32_e64 v1, s2, s5, v3, s2
	;; [unrolled: 4-line block ×3, first 2 shown]
	global_load_b32 v0, v[0:1], off
	global_load_b32 v1, v[2:3], off
	v_lshl_add_u32 v3, v52, 2, v54
	v_add_nc_u32_e32 v2, v54, v51
	s_delay_alu instid0(VALU_DEP_1)
	v_add_nc_u32_e32 v38, 0x200, v2
	v_add_nc_u32_e32 v39, 0x400, v2
	;; [unrolled: 1-line block ×5, first 2 shown]
	s_wait_loadcnt 0x21
	v_lshrrev_b32_e32 v43, 16, v4
	s_wait_loadcnt 0x20
	v_lshrrev_b32_e32 v44, 16, v5
	;; [unrolled: 2-line block ×16, first 2 shown]
	v_mul_f16_e32 v62, v43, v20
	s_wait_loadcnt 0x11
	v_lshrrev_b32_e32 v63, 16, v21
	s_wait_loadcnt 0x10
	v_lshrrev_b32_e32 v64, 16, v22
	;; [unrolled: 2-line block ×3, first 2 shown]
	v_mul_f16_e32 v43, v43, v59
	v_fma_f16 v59, v4, v59, -v62
	v_mul_f16_e32 v62, v44, v22
	s_delay_alu instid0(VALU_DEP_3)
	v_fmac_f16_e32 v43, v4, v20
	v_mul_f16_e32 v4, v44, v64
	s_wait_loadcnt 0xe
	v_lshrrev_b32_e32 v20, 16, v25
	v_mul_f16_e32 v44, v45, v25
	v_fma_f16 v62, v5, v64, -v62
	v_pack_b32_f16 v43, v43, v59
	v_fmac_f16_e32 v4, v5, v22
	v_mul_f16_e32 v5, v45, v20
	s_wait_loadcnt 0xd
	v_lshrrev_b32_e32 v22, 16, v26
	v_fma_f16 v20, v6, v20, -v44
	v_mul_f16_e32 v44, v46, v26
	ds_store_b32 v3, v43
	v_pack_b32_f16 v3, v4, v62
	v_fmac_f16_e32 v5, v6, v25
	v_mul_f16_e32 v4, v46, v22
	s_wait_loadcnt 0xc
	v_lshrrev_b32_e32 v6, 16, v27
	v_mul_f16_e32 v25, v47, v27
	v_fma_f16 v22, v7, v22, -v44
	v_pack_b32_f16 v5, v5, v20
	v_fmac_f16_e32 v4, v7, v26
	v_mul_f16_e32 v7, v47, v6
	s_wait_loadcnt 0xb
	v_lshrrev_b32_e32 v20, 16, v28
	v_fma_f16 v6, v8, v6, -v25
	v_mul_f16_e32 v25, v48, v28
	ds_store_2addr_b32 v2, v3, v5 offset0:75 offset1:150
	v_pack_b32_f16 v3, v4, v22
	v_fmac_f16_e32 v7, v8, v27
	v_mul_f16_e32 v4, v48, v20
	s_wait_loadcnt 0xa
	v_lshrrev_b32_e32 v5, 16, v29
	v_mul_f16_e32 v8, v49, v29
	v_fma_f16 v20, v9, v20, -v25
	v_pack_b32_f16 v6, v7, v6
	v_fmac_f16_e32 v4, v9, v28
	v_mul_f16_e32 v7, v49, v5
	v_fma_f16 v5, v10, v5, -v8
	s_wait_loadcnt 0x9
	v_lshrrev_b32_e32 v8, 16, v30
	v_mul_f16_e32 v9, v50, v30
	ds_store_2addr_b32 v38, v3, v6 offset0:97 offset1:172
	v_pack_b32_f16 v3, v4, v20
	v_fmac_f16_e32 v7, v10, v29
	v_mul_f16_e32 v4, v50, v8
	s_wait_loadcnt 0x8
	v_lshrrev_b32_e32 v6, 16, v31
	v_mul_f16_e32 v10, v53, v31
	v_fma_f16 v8, v11, v8, -v9
	v_pack_b32_f16 v5, v7, v5
	v_fmac_f16_e32 v4, v11, v30
	v_mul_f16_e32 v7, v53, v6
	s_wait_loadcnt 0x7
	v_lshrrev_b32_e32 v9, 16, v32
	v_fma_f16 v6, v12, v6, -v10
	v_mul_f16_e32 v10, v55, v32
	ds_store_2addr_b32 v39, v3, v5 offset0:119 offset1:194
	v_pack_b32_f16 v3, v4, v8
	v_fmac_f16_e32 v7, v12, v31
	v_mul_f16_e32 v4, v55, v9
	s_wait_loadcnt 0x6
	v_lshrrev_b32_e32 v5, 16, v33
	v_fma_f16 v8, v13, v9, -v10
	v_mul_f16_e32 v9, v56, v33
	v_pack_b32_f16 v6, v7, v6
	v_fmac_f16_e32 v4, v13, v32
	v_mul_f16_e32 v7, v56, v5
	s_wait_loadcnt 0x5
	v_lshrrev_b32_e32 v10, 16, v34
	v_mul_f16_e32 v11, v57, v34
	v_fma_f16 v5, v14, v5, -v9
	v_pack_b32_f16 v4, v4, v8
	v_fmac_f16_e32 v7, v14, v33
	v_mul_f16_e32 v8, v57, v10
	v_fma_f16 v9, v15, v10, -v11
	s_wait_loadcnt 0x4
	v_lshrrev_b32_e32 v10, 16, v35
	v_mul_f16_e32 v11, v58, v35
	v_pack_b32_f16 v5, v7, v5
	v_fmac_f16_e32 v8, v15, v34
	s_wait_loadcnt 0x3
	v_lshrrev_b32_e32 v7, 16, v36
	v_mul_f16_e32 v12, v58, v10
	v_fma_f16 v10, v17, v10, -v11
	v_mul_f16_e32 v11, v60, v36
	s_wait_loadcnt 0x2
	v_lshrrev_b32_e32 v13, 16, v37
	v_pack_b32_f16 v8, v8, v9
	v_mul_f16_e32 v9, v60, v7
	v_fmac_f16_e32 v12, v17, v35
	v_fma_f16 v7, v18, v7, -v11
	v_mul_f16_e32 v11, v61, v37
	s_wait_loadcnt 0x1
	v_lshrrev_b32_e32 v14, 16, v0
	s_wait_loadcnt 0x0
	v_lshrrev_b32_e32 v17, 16, v1
	v_mul_f16_e32 v15, v61, v13
	v_fmac_f16_e32 v9, v18, v36
	v_fma_f16 v11, v19, v13, -v11
	v_mul_f16_e32 v13, v63, v0
	v_mul_f16_e32 v18, v63, v14
	;; [unrolled: 1-line block ×4, first 2 shown]
	v_fmac_f16_e32 v15, v19, v37
	v_fma_f16 v13, v21, v14, -v13
	v_fmac_f16_e32 v18, v21, v0
	v_fma_f16 v0, v23, v17, -v20
	v_fmac_f16_e32 v22, v23, v1
	v_pack_b32_f16 v1, v12, v10
	v_pack_b32_f16 v7, v9, v7
	;; [unrolled: 1-line block ×5, first 2 shown]
	v_add_nc_u32_e32 v2, 0x1000, v2
	ds_store_2addr_b32 v40, v3, v6 offset0:13 offset1:88
	ds_store_2addr_b32 v40, v4, v5 offset0:163 offset1:238
	;; [unrolled: 1-line block ×5, first 2 shown]
.LBB0_3:
	s_or_b32 exec_lo, exec_lo, s3
	s_clause 0x1
	s_load_b64 s[4:5], s[0:1], 0x20
	s_load_b64 s[2:3], s[0:1], 0x8
	v_mov_b32_e32 v6, 0
                                        ; kill: def $vgpr0 killed $sgpr0 killed $exec
	global_wb scope:SCOPE_SE
	s_wait_dscnt 0x0
	s_wait_kmcnt 0x0
	s_barrier_signal -1
	s_barrier_wait -1
	global_inv scope:SCOPE_SE
                                        ; implicit-def: $vgpr17
                                        ; implicit-def: $vgpr1
                                        ; implicit-def: $vgpr3
                                        ; implicit-def: $vgpr5
                                        ; implicit-def: $vgpr9
                                        ; implicit-def: $vgpr11
                                        ; implicit-def: $vgpr15
                                        ; implicit-def: $vgpr13
                                        ; implicit-def: $vgpr92
	s_and_saveexec_b32 s0, vcc_lo
	s_cbranch_execz .LBB0_5
; %bb.4:
	v_lshl_add_u32 v17, v16, 2, v51
	ds_load_2addr_b32 v[6:7], v17 offset1:75
	ds_load_2addr_b32 v[12:13], v17 offset0:150 offset1:225
	v_add_nc_u32_e32 v0, 0x400, v17
	v_add_nc_u32_e32 v1, 0x600, v17
	;; [unrolled: 1-line block ×6, first 2 shown]
	ds_load_2addr_b32 v[14:15], v0 offset0:44 offset1:119
	ds_load_2addr_b32 v[10:11], v1 offset0:66 offset1:141
	ds_load_2addr_b32 v[8:9], v2 offset0:88 offset1:163
	ds_load_2addr_b32 v[4:5], v3 offset0:110 offset1:185
	ds_load_2addr_b32 v[2:3], v18 offset0:132 offset1:207
	ds_load_2addr_b32 v[0:1], v19 offset0:26 offset1:101
	ds_load_b32 v17, v17 offset:4800
	s_wait_dscnt 0x7
	v_alignbit_b32 v92, v12, v12, 16
.LBB0_5:
	s_wait_alu 0xfffe
	s_or_b32 exec_lo, exec_lo, s0
	s_wait_dscnt 0x0
	v_pk_add_f16 v12, v7, v17 neg_lo:[0,1] neg_hi:[0,1]
	v_pk_add_f16 v21, v17, v7
	v_pk_add_f16 v22, v92, v1 op_sel:[1,0] op_sel_hi:[0,1] neg_lo:[0,1] neg_hi:[0,1]
	v_pk_add_f16 v18, v1, v92 op_sel:[1,0] op_sel_hi:[0,1]
	v_pk_add_f16 v19, v13, v0 neg_lo:[0,1] neg_hi:[0,1]
	v_lshrrev_b32_e32 v71, 16, v12
	v_pk_mul_f16 v23, 0x3b7639e9, v21
	v_lshrrev_b32_e32 v74, 16, v22
	v_lshrrev_b32_e32 v38, 16, v21
	v_mul_f16_e32 v73, 0xb964, v12
	v_mul_f16_e32 v59, 0xb5c8, v71
	v_lshrrev_b32_e32 v36, 16, v18
	v_mul_f16_e32 v60, 0xb964, v74
	v_lshrrev_b32_e32 v75, 16, v19
	v_pk_fma_f16 v45, 0xb964b5c8, v12, v23 op_sel:[0,0,1] op_sel_hi:[1,1,0] neg_lo:[0,1,0] neg_hi:[0,1,0]
	v_fmamk_f16 v25, v21, 0x3b76, v59
	v_pk_fma_f16 v46, 0xb964b5c8, v12, v23 op_sel:[0,0,1] op_sel_hi:[1,1,0]
	v_pk_add_f16 v23, v14, v3 neg_lo:[0,1] neg_hi:[0,1]
	v_lshrrev_b32_e32 v34, 16, v6
	v_pk_add_f16 v20, v0, v13
	v_pk_mul_f16 v26, 0xbbf7b964, v22
	v_mul_f16_e32 v76, 0xbbf7, v22
	v_fma_f16 v27, v38, 0x39e9, -v73
	v_fmamk_f16 v28, v36, 0x39e9, v60
	v_add_f16_e32 v25, v25, v6
	v_mul_f16_e32 v61, 0xbb29, v75
	v_lshrrev_b32_e32 v78, 16, v23
	v_add_f16_e32 v29, v27, v34
	v_pk_fma_f16 v47, 0x2de839e9, v18, v26 neg_lo:[0,0,1] neg_hi:[0,0,1]
	v_add_f16_e32 v25, v28, v25
	v_pk_fma_f16 v48, 0x2de839e9, v18, v26
	v_fma_f16 v26, v18, 0x2de8, -v76
	v_fmamk_f16 v28, v20, 0x3722, v61
	v_lshrrev_b32_e32 v40, 16, v20
	v_mul_f16_e32 v79, 0xba62, v19
	v_pk_add_f16 v27, v3, v14
	v_mul_f16_e32 v62, 0xbbf7, v78
	v_pk_mul_f16 v30, 0x3722b8d2, v20
	v_add_f16_e32 v26, v26, v29
	v_add_f16_e32 v25, v28, v25
	v_fma_f16 v29, v40, 0xb8d2, -v79
	v_fmamk_f16 v31, v27, 0x2de8, v62
	v_pk_add_f16 v28, v15, v2 neg_lo:[0,1] neg_hi:[0,1]
	v_pk_fma_f16 v49, 0xba62bb29, v19, v30 op_sel:[0,0,1] op_sel_hi:[1,1,0] neg_lo:[0,1,0] neg_hi:[0,1,0]
	v_pk_fma_f16 v50, 0xba62bb29, v19, v30 op_sel:[0,0,1] op_sel_hi:[1,1,0]
	v_add_f16_e32 v26, v29, v26
	v_add_f16_e32 v25, v31, v25
	v_pk_mul_f16 v31, 0x2de8bbdd, v27
	v_lshrrev_b32_e32 v80, 16, v28
	v_lshrrev_b32_e32 v39, 16, v27
	v_mul_f16_e32 v85, 0xb1e1, v23
	v_pk_add_f16 v30, v2, v15
	v_pk_add_f16 v29, v10, v5 neg_lo:[0,1] neg_hi:[0,1]
	v_mul_f16_e32 v69, 0xbbb2, v80
	v_pk_fma_f16 v53, 0xb1e1bbf7, v23, v31 op_sel:[0,0,1] op_sel_hi:[1,1,0] neg_lo:[0,1,0] neg_hi:[0,1,0]
	v_pk_fma_f16 v55, 0xb1e1bbf7, v23, v31 op_sel:[0,0,1] op_sel_hi:[1,1,0]
	v_fma_f16 v32, v39, 0xbbdd, -v85
	v_lshrrev_b32_e32 v83, 16, v29
	v_pk_add_f16 v31, v5, v10
	v_pk_mul_f16 v35, 0xb461bacd, v30
	v_fmamk_f16 v33, v30, 0xb461, v69
	v_lshrrev_b32_e32 v41, 16, v30
	v_mul_f16_e32 v86, 0x3836, v28
	v_mul_f16_e32 v65, 0xba62, v83
	v_add_f16_e32 v26, v32, v26
	v_pk_add_f16 v32, v11, v4 neg_lo:[0,1] neg_hi:[0,1]
	v_pk_fma_f16 v63, 0x3836bbb2, v28, v35 op_sel:[0,0,1] op_sel_hi:[1,1,0] neg_lo:[0,1,0] neg_hi:[0,1,0]
	v_pk_fma_f16 v64, 0x3836bbb2, v28, v35 op_sel:[0,0,1] op_sel_hi:[1,1,0]
	v_pk_mul_f16 v35, 0xb8d2b461, v31
	v_add_f16_e32 v25, v33, v25
	v_fma_f16 v33, v41, 0xbacd, -v86
	v_fmamk_f16 v37, v31, 0xb8d2, v65
	v_lshrrev_b32_e32 v87, 16, v32
	v_lshrrev_b32_e32 v42, 16, v31
	v_mul_f16_e32 v88, 0x3bb2, v29
	v_pk_fma_f16 v66, 0x3bb2ba62, v29, v35 op_sel:[0,0,1] op_sel_hi:[1,1,0] neg_lo:[0,1,0] neg_hi:[0,1,0]
	v_pk_fma_f16 v67, 0x3bb2ba62, v29, v35 op_sel:[0,0,1] op_sel_hi:[1,1,0]
	v_lshrrev_b32_e32 v35, 16, v46
	v_add_f16_e32 v26, v33, v26
	v_add_f16_e32 v25, v37, v25
	v_pk_add_f16 v33, v4, v11
	v_mul_f16_e32 v68, 0xb836, v87
	v_fma_f16 v37, v42, 0xb461, -v88
	v_add_f16_e32 v56, v45, v34
	v_add_f16_e32 v35, v35, v6
	v_lshrrev_b32_e32 v57, 16, v48
	v_fmamk_f16 v43, v33, 0xbacd, v68
	v_add_f16_e32 v26, v37, v26
	v_add_f16_e32 v37, v47, v56
	v_pk_mul_f16 v44, 0xbacd3722, v33
	v_add_f16_e32 v56, v57, v35
	v_lshrrev_b32_e32 v57, 16, v50
	v_add_f16_e32 v25, v43, v25
	v_lshrrev_b32_e32 v43, 16, v33
	v_mul_f16_e32 v90, 0x3b29, v32
	v_add_f16_e32 v37, v49, v37
	v_add_f16_e32 v56, v57, v56
	v_lshrrev_b32_e32 v57, 16, v55
	v_pk_fma_f16 v72, 0x3b29b836, v32, v44 op_sel:[0,0,1] op_sel_hi:[1,1,0] neg_lo:[0,1,0] neg_hi:[0,1,0]
	v_pk_add_f16 v35, v8, v9 neg_lo:[0,1] neg_hi:[0,1]
	v_pk_fma_f16 v77, 0x3b29b836, v32, v44 op_sel:[0,0,1] op_sel_hi:[1,1,0]
	v_fma_f16 v44, v43, 0x3722, -v90
	v_add_f16_e32 v58, v53, v37
	v_add_f16_e32 v56, v57, v56
	v_lshrrev_b32_e32 v57, 16, v64
	v_pk_add_f16 v37, v9, v8
	v_lshrrev_b32_e32 v89, 16, v35
	v_add_f16_e32 v70, v44, v26
	v_add_f16_e32 v26, v63, v58
	;; [unrolled: 1-line block ×3, first 2 shown]
	v_lshrrev_b32_e32 v57, 16, v67
	v_pk_mul_f16 v82, 0xbbdd3b76, v37
	v_mul_f16_e32 v84, 0xb1e1, v89
	v_add_f16_e32 v26, v66, v26
	v_lshrrev_b32_e32 v44, 16, v37
	v_add_f16_e32 v56, v57, v56
	v_lshrrev_b32_e32 v57, 16, v77
	v_pk_fma_f16 v81, 0x35c8b1e1, v35, v82 op_sel:[0,0,1] op_sel_hi:[1,1,0]
	v_mul_f16_e32 v91, 0x35c8, v35
	v_fmamk_f16 v58, v37, 0xbbdd, v84
	v_pk_fma_f16 v82, 0x35c8b1e1, v35, v82 op_sel:[0,0,1] op_sel_hi:[1,1,0] neg_lo:[0,1,0] neg_hi:[0,1,0]
	v_add_f16_e32 v93, v72, v26
	v_add_f16_e32 v56, v57, v56
	v_lshrrev_b32_e32 v94, 16, v81
	v_fma_f16 v95, v44, 0x3b76, -v91
	v_add_f16_e32 v26, v58, v25
	v_add_f16_e32 v57, v82, v93
	global_wb scope:SCOPE_SE
	v_add_f16_e32 v25, v94, v56
	v_add_f16_e32 v58, v95, v70
	v_mul_lo_u16 v56, v52, 17
	s_barrier_signal -1
	s_barrier_wait -1
	global_inv scope:SCOPE_SE
	s_and_saveexec_b32 s0, vcc_lo
	s_cbranch_execz .LBB0_7
; %bb.6:
	v_mul_f16_e32 v100, 0xb836, v12
	v_alignbit_b32 v70, v6, v6, 16
	v_mul_f16_e32 v101, 0x3b29, v22
	v_alignbit_b32 v92, v92, v92, 16
	v_mul_f16_e32 v102, 0xbbf7, v19
	v_fmamk_f16 v93, v38, 0xbacd, v100
	v_pk_add_f16 v7, v7, v70 op_sel:[0,1] op_sel_hi:[1,0]
	v_fmamk_f16 v94, v18, 0x3722, v101
	v_mul_f16_e32 v99, 0xb836, v71
	v_mul_f16_e32 v103, 0x3a62, v23
	v_add_f16_e32 v93, v93, v34
	v_fmamk_f16 v95, v40, 0x2de8, v102
	v_pk_add_f16 v7, v92, v7
	v_mul_f16_e32 v96, 0x3b29, v74
	v_mul_f16_e32 v104, 0xb5c8, v28
	v_add_f16_e32 v92, v94, v93
	v_fma_f16 v93, v21, 0xbacd, -v99
	v_fmamk_f16 v94, v39, 0xb8d2, v103
	v_pk_add_f16 v7, v13, v7
	v_mul_f16_e32 v97, 0xbbf7, v75
	v_add_f16_e32 v13, v95, v92
	v_fma_f16 v92, v36, 0x3722, -v96
	v_fmamk_f16 v95, v41, 0x3b76, v104
	v_add_f16_e32 v93, v93, v6
	v_pk_add_f16 v7, v14, v7
	v_add_f16_e32 v13, v94, v13
	v_mul_f16_e32 v105, 0xb1e1, v29
	v_fma_f16 v14, v20, 0x2de8, -v97
	v_add_f16_e32 v92, v92, v93
	v_pk_add_f16 v15, v15, v7
	v_add_f16_e32 v7, v95, v13
	v_fmamk_f16 v13, v42, 0xbbdd, v105
	v_mul_f16_e32 v98, 0x3a62, v78
	v_mul_f16_e32 v106, 0x3964, v32
	;; [unrolled: 1-line block ×3, first 2 shown]
	v_add_f16_e32 v14, v14, v92
	v_add_f16_e32 v7, v13, v7
	v_fma_f16 v13, v27, 0xb8d2, -v98
	v_mul_f16_e32 v108, 0xb5c8, v80
	v_fmamk_f16 v92, v43, 0x39e9, v106
	v_fmamk_f16 v93, v38, 0xb8d2, v107
	v_mul_f16_e32 v109, 0x3bb2, v22
	v_add_f16_e32 v13, v13, v14
	v_fma_f16 v14, v30, 0x3b76, -v108
	v_add_f16_e32 v7, v92, v7
	v_add_f16_e32 v92, v93, v34
	v_fmamk_f16 v93, v18, 0xb461, v109
	v_mul_f16_e32 v110, 0xb5c8, v19
	v_add_f16_e32 v13, v14, v13
	v_mul_f16_e32 v112, 0xb1e1, v83
	v_mul_f16_e32 v113, 0xb836, v23
	v_add_f16_e32 v14, v93, v92
	v_fmamk_f16 v92, v40, 0x3b76, v110
	v_mul_f16_e32 v111, 0xbbb2, v35
	v_fma_f16 v94, v31, 0xbbdd, -v112
	v_mul_f16_e32 v114, 0x3964, v87
	v_mul_f16_e32 v115, 0x3bf7, v28
	v_add_f16_e32 v14, v92, v14
	v_fmamk_f16 v92, v39, 0xbacd, v113
	v_fmamk_f16 v93, v44, 0xb461, v111
	v_add_f16_e32 v13, v94, v13
	v_fma_f16 v94, v33, 0x39e9, -v114
	v_mul_f16_e32 v116, 0xb964, v29
	v_add_f16_e32 v14, v92, v14
	v_fmamk_f16 v92, v41, 0x2de8, v115
	v_mul_f16_e32 v117, 0xbbb2, v89
	v_mul_f16_e32 v118, 0xba62, v71
	v_add_f16_e32 v7, v93, v7
	v_add_f16_e32 v13, v94, v13
	;; [unrolled: 1-line block ×3, first 2 shown]
	v_fmamk_f16 v92, v42, 0x39e9, v116
	v_mul_f16_e32 v119, 0xb1e1, v32
	v_fma_f16 v93, v37, 0xb461, -v117
	v_fma_f16 v94, v21, 0xb8d2, -v118
	v_mul_f16_e32 v120, 0x3bb2, v74
	v_add_f16_e32 v14, v92, v14
	v_fmamk_f16 v92, v43, 0xbbdd, v119
	v_add_f16_e32 v13, v93, v13
	v_add_f16_e32 v93, v94, v6
	v_fma_f16 v94, v36, 0xb461, -v120
	v_mul_f16_e32 v121, 0xb5c8, v75
	v_mul_f16_e32 v123, 0xbbb2, v12
	v_add_f16_e32 v14, v92, v14
	v_mul_f16_e32 v124, 0xb836, v78
	v_add_f16_e32 v92, v94, v93
	v_fma_f16 v93, v20, 0x3b76, -v121
	v_fmamk_f16 v95, v38, 0xb461, v123
	v_mul_f16_e32 v125, 0x3836, v22
	v_mul_f16_e32 v126, 0x3bf7, v80
	v_mul_f16_e64 v128, 0x3964, v19
	v_add_f16_e32 v92, v93, v92
	v_fma_f16 v93, v27, 0xbacd, -v124
	v_add_f16_e32 v95, v95, v34
	v_fmamk_f16 v127, v18, 0xbacd, v125
	v_mul_f16_e32 v122, 0x3b29, v35
	v_mul_f16_e64 v129, 0xb964, v83
	v_add_f16_e32 v92, v93, v92
	v_fma_f16 v93, v30, 0x2de8, -v126
	v_add_f16_e32 v95, v127, v95
	v_fma_f16 v127, 0x39e9, v40, v128
	v_mul_f16_e64 v130, 0xbb29, v23
	v_fmamk_f16 v94, v44, 0x3722, v122
	v_add_f16_e32 v92, v93, v92
	v_fma_f16 v93, v31, 0x39e9, -v129
	v_mul_f16_e64 v131, 0xb1e1, v87
	v_add_f16_e32 v95, v127, v95
	v_fma_f16 v127, 0x3722, v39, v130
	v_mul_f16_e64 v132, 0xb1e1, v28
	v_add_f16_e32 v92, v93, v92
	v_fma_f16 v93, v33, 0xbbdd, -v131
	v_add_f16_e32 v14, v94, v14
	v_add_f16_e32 v94, v127, v95
	v_fma_f16 v95, 0xbbdd, v41, v132
	v_mul_f16_e32 v127, 0x3bf7, v29
	v_mul_f16_e64 v133, 0x3b29, v89
	v_mul_f16_e64 v134, 0xbbb2, v71
	v_add_f16_e32 v92, v93, v92
	v_add_f16_e32 v93, v95, v94
	v_fmamk_f16 v94, v42, 0x2de8, v127
	v_mul_f16_e64 v135, 0xb5c8, v32
	v_fma_f16 v95, v37, 0x3722, -v133
	v_fma_f16 v136, v21, 0xb461, -v134
	v_mul_f16_e64 v137, 0x3836, v74
	v_add_f16_e32 v93, v94, v93
	v_fma_f16 v94, 0x3b76, v43, v135
	v_add_f16_e32 v92, v95, v92
	v_add_f16_e64 v95, v136, v6
	v_fma_f16 v136, v36, 0xbacd, -v137
	v_mul_f16_e64 v138, 0x3964, v75
	v_mul_f16_e64 v140, 0xbbf7, v12
	v_add_f16_e32 v93, v94, v93
	v_mul_f16_e64 v143, 0xb1e1, v22
	v_add_f16_e64 v94, v136, v95
	v_fma_f16 v95, v20, 0x39e9, -v138
	v_mul_f16_e64 v136, 0xbb29, v78
	v_fma_f16 v142, 0x2de8, v38, v140
	v_mul_f16_e64 v144, 0xb1e1, v80
	v_fma_f16 v145, 0xbbdd, v18, v143
	v_add_f16_e32 v94, v95, v94
	v_fma_f16 v95, v27, 0x3722, -v136
	v_add_f16_e64 v142, v142, v34
	v_mul_f16_e64 v146, 0x3bb2, v19
	v_mul_f16_e64 v139, 0xba62, v35
	;; [unrolled: 1-line block ×3, first 2 shown]
	v_add_f16_e32 v94, v95, v94
	v_fma_f16 v95, v30, 0xbbdd, -v144
	v_add_f16_e64 v142, v145, v142
	v_fma_f16 v145, 0xb461, v40, v146
	v_mul_f16_e64 v148, 0x35c8, v23
	v_fma_f16 v141, 0xb8d2, v44, v139
	v_add_f16_e32 v94, v95, v94
	v_fma_f16 v95, v31, 0x2de8, -v147
	v_mul_f16_e64 v149, 0xb5c8, v87
	v_add_f16_e64 v142, v145, v142
	v_fma_f16 v145, 0x3b76, v39, v148
	v_mul_f16_e64 v150, 0xbb29, v28
	v_add_f16_e32 v94, v95, v94
	v_fma_f16 v95, v33, 0x3b76, -v149
	v_add_f16_e64 v93, v141, v93
	v_add_f16_e64 v141, v145, v142
	v_fma_f16 v142, 0x3722, v41, v150
	v_mul_f16_e64 v145, 0xb836, v29
	v_mul_f16_e64 v151, 0xbbf7, v71
	v_add_f16_e32 v94, v95, v94
	v_mul_f16_e64 v152, 0xba62, v89
	v_add_f16_e64 v95, v142, v141
	v_fma_f16 v141, 0xbacd, v42, v145
	v_mul_f16_e64 v142, 0x3a62, v32
	v_fma_f16 v153, v21, 0x2de8, -v151
	v_mul_f16_e64 v154, 0xb1e1, v74
	v_fma_f16 v155, v37, 0xb8d2, -v152
	v_add_f16_e64 v95, v141, v95
	v_fma_f16 v141, 0xb8d2, v43, v142
	v_add_f16_e64 v153, v153, v6
	v_fma_f16 v156, v36, 0xbbdd, -v154
	v_mul_f16_e64 v157, 0x3bb2, v75
	v_add_f16_e64 v94, v155, v94
	v_add_f16_e64 v95, v141, v95
	v_mul_f16_e64 v141, 0xbb29, v12
	v_add_f16_e64 v153, v156, v153
	v_fma_f16 v155, v20, 0xb461, -v157
	v_mul_f16_e64 v156, 0x35c8, v78
	v_mul_f16_e64 v160, 0xba62, v22
	v_fma_f16 v159, 0x3722, v38, v141
	v_mul_f16_e64 v161, 0xbb29, v80
	v_add_f16_e64 v153, v155, v153
	v_fma_f16 v155, v27, 0x3b76, -v156
	v_fma_f16 v162, 0xb8d2, v18, v160
	v_add_f16_e64 v159, v159, v34
	v_mul_f16_e64 v163, 0x31e1, v19
	v_mul_f16_e64 v164, 0xb836, v83
	v_add_f16_e64 v153, v155, v153
	v_fma_f16 v155, v30, 0x3722, -v161
	v_add_f16_e64 v159, v162, v159
	v_fma_f16 v162, 0xbbdd, v40, v163
	v_mul_f16_e64 v165, 0x3bb2, v23
	v_mul_f16_e64 v166, 0x3a62, v87
	v_add_f16_e64 v153, v155, v153
	v_fma_f16 v155, v31, 0xbacd, -v164
	v_mul_f16_e64 v158, 0x3964, v35
	v_add_f16_e64 v159, v162, v159
	v_fma_f16 v162, 0xb461, v39, v165
	v_mul_f16_e64 v167, 0x3964, v28
	v_add_f16_e64 v153, v155, v153
	v_fma_f16 v155, v33, 0xb8d2, -v166
	v_mul_f16_e64 v168, 0x3964, v89
	v_add_f16_e64 v159, v162, v159
	v_fma_f16 v162, 0x39e9, v41, v167
	v_mul_f16_e64 v169, 0xb5c8, v29
	v_fma_f16 v170, 0x39e9, v44, v158
	v_add_f16_e64 v153, v155, v153
	v_fma_f16 v155, v37, 0x39e9, -v168
	v_add_f16_e64 v159, v162, v159
	v_fma_f16 v162, 0x3b76, v42, v169
	v_add_f16_e64 v95, v170, v95
	v_mul_f16_e64 v170, 0xbbf7, v32
	v_mul_f16_e64 v171, 0xbb29, v71
	v_add_f16_e64 v71, v155, v153
	v_mul_f16_e64 v155, 0x39e9, v38
	v_add_f16_e64 v153, v162, v159
	v_fma_f16 v159, 0x2de8, v43, v170
	v_fma_f16 v162, v21, 0x3722, -v171
	v_mul_f16_e32 v74, 0xba62, v74
	v_mul_f16_e64 v172, 0x2de8, v18
	v_add_f16_e64 v73, v73, v155
	v_add_f16_e64 v153, v159, v153
	v_add_f16_e64 v155, v162, v6
	v_fma_f16 v159, v36, 0xb8d2, -v74
	v_add_f16_e64 v76, v76, v172
	v_add_f16_e32 v73, v73, v34
	v_mul_f16_e64 v162, 0xb8d2, v40
	v_mul_f16_e64 v172, 0xb836, v35
	v_add_f16_e64 v155, v159, v155
	v_mul_f16_e64 v159, 0xbbdd, v39
	v_add_f16_e32 v73, v76, v73
	v_add_f16_e64 v79, v79, v162
	v_fma_f16 v162, 0xbacd, v44, v172
	v_bfi_b32 v45, 0xffff, v46, v45
	v_add_f16_e64 v85, v85, v159
	v_bfi_b32 v46, 0xffff, v48, v47
	v_add_f16_e32 v79, v79, v73
	v_add_f16_e64 v73, v162, v153
	v_mul_f16_e64 v153, 0xbacd, v41
	v_bfi_b32 v47, 0xffff, v50, v49
	v_mul_f16_e32 v48, 0xbbdd, v37
	v_add_f16_e32 v79, v85, v79
	v_mul_f16_e32 v85, 0x3b76, v21
	v_add_f16_e64 v86, v86, v153
	v_mul_f16_e64 v153, 0x39e9, v36
	v_fma_f16 v50, v39, 0xb8d2, -v103
	v_bfi_b32 v53, 0xffff, v55, v53
	v_sub_f16_e32 v59, v85, v59
	v_add_f16_e32 v79, v86, v79
	v_sub_f16_e64 v60, v153, v60
	v_mul_f16_e32 v86, 0x3722, v20
	v_mul_f16_e32 v85, 0xb461, v42
	v_add_f16_e32 v59, v59, v6
	v_sub_f16_e32 v48, v48, v84
	v_fmac_f16_e32 v99, 0xbacd, v21
	v_sub_f16_e32 v61, v86, v61
	v_mul_f16_e32 v86, 0x2de8, v27
	v_add_f16_e32 v59, v60, v59
	v_add_f16_e32 v85, v88, v85
	v_mul_f16_e32 v60, 0xbbf7, v87
	v_mul_f16_e32 v87, 0x3722, v43
	v_fmac_f16_e32 v96, 0x3722, v36
	v_add_f16_e32 v59, v61, v59
	v_sub_f16_e32 v61, v86, v62
	v_mul_f16_e32 v62, 0xb461, v30
	v_add_f16_e32 v79, v85, v79
	v_add_f16_e32 v87, v90, v87
	v_fma_f16 v86, v38, 0xbacd, -v100
	v_add_f16_e32 v59, v61, v59
	v_sub_f16_e32 v61, v62, v69
	v_mul_f16_e32 v69, 0xb8d2, v31
	v_add_f16_e32 v79, v87, v79
	v_add_f16_e32 v86, v86, v34
	v_fma_f16 v87, v18, 0x3722, -v101
	v_add_f16_e32 v59, v61, v59
	v_sub_f16_e32 v65, v69, v65
	v_mul_f16_e32 v69, 0xbacd, v33
	v_fmac_f16_e32 v97, 0x2de8, v20
	v_fmac_f16_e32 v98, 0xb8d2, v27
	;; [unrolled: 1-line block ×3, first 2 shown]
	v_add_f16_e32 v59, v65, v59
	v_sub_f16_e32 v65, v69, v68
	v_add_f16_e32 v68, v87, v86
	v_fma_f16 v69, v40, 0x2de8, -v102
	v_fmac_f16_e32 v120, 0xb461, v36
	v_fmac_f16_e32 v121, 0x3b76, v20
	v_add_f16_e32 v55, v65, v59
	v_bfi_b32 v59, 0xffff, v64, v63
	v_add_f16_e32 v49, v69, v68
	v_bfi_b32 v63, 0xffff, v67, v66
	v_add_f16_e32 v66, v99, v6
	v_add_f16_e32 v48, v48, v55
	v_fma_f16 v55, v38, 0xb8d2, -v107
	v_add_f16_e32 v49, v50, v49
	v_fma_f16 v50, v41, 0x3b76, -v104
	;; [unrolled: 2-line block ×3, first 2 shown]
	v_add_f16_e32 v55, v55, v34
	v_mul_f16_e32 v75, 0x31e1, v75
	v_add_f16_e32 v49, v50, v49
	v_fma_f16 v50, v42, 0xbbdd, -v105
	v_add_f16_e32 v66, v97, v66
	v_add_f16_e32 v55, v67, v55
	v_fma_f16 v67, v40, 0x3b76, -v110
	v_fmac_f16_e32 v124, 0xbacd, v27
	v_add_f16_e32 v49, v50, v49
	v_fma_f16 v50, v43, 0x39e9, -v106
	v_fma_f16 v76, v20, 0xbbdd, -v75
	v_add_f16_e32 v55, v67, v55
	v_add_f16_e32 v67, v118, v6
	v_mul_f16_e32 v78, 0x3bb2, v78
	v_add_f16_e32 v49, v50, v49
	v_fma_f16 v50, v44, 0xb461, -v111
	v_fmac_f16_e32 v126, 0x2de8, v30
	v_add_f16_e32 v67, v120, v67
	v_fma_f16 v68, v38, 0xb461, -v123
	v_add_f16_e64 v76, v76, v155
	v_add_f16_e32 v49, v50, v49
	v_add_f16_e32 v50, v98, v66
	v_fma_f16 v66, v39, 0xbacd, -v113
	v_add_f16_e32 v67, v121, v67
	v_fma_f16 v155, v27, 0xb461, -v78
	v_mul_f16_e32 v80, 0x3964, v80
	v_fmac_f16_e64 v129, 0x39e9, v31
	v_add_f16_e32 v55, v66, v55
	v_fma_f16 v66, v41, 0x2de8, -v115
	v_add_f16_e32 v67, v124, v67
	v_add_f16_e32 v68, v68, v34
	v_fma_f16 v69, v18, 0xbacd, -v125
	v_add_f16_e64 v76, v155, v76
	v_add_f16_e32 v55, v66, v55
	v_fma_f16 v66, v42, 0x39e9, -v116
	v_add_f16_e32 v67, v126, v67
	v_fma_f16 v155, v30, 0x39e9, -v80
	v_mul_f16_e32 v83, 0xb5c8, v83
	v_bfi_b32 v64, 0xffff, v77, v72
	v_add_f16_e32 v55, v66, v55
	v_fma_f16 v66, v43, 0xbbdd, -v119
	v_add_f16_e64 v76, v155, v76
	v_fma_f16 v155, v31, 0x3b76, -v83
	v_fma_f16 v72, v38, 0x2de8, -v140
	v_fma_f16 v85, v33, 0x2de8, -v60
	v_add_f16_e32 v55, v66, v55
	v_fma_f16 v66, v44, 0x3722, -v122
	v_add_f16_e64 v76, v155, v76
	v_add_f16_e32 v72, v72, v34
	v_fma_f16 v77, v18, 0xbbdd, -v143
	v_mul_f16_e32 v62, 0xb836, v89
	v_add_f16_e32 v55, v66, v55
	v_add_f16_e64 v66, v129, v67
	v_add_f16_e32 v67, v69, v68
	v_fma_f16 v68, v40, 0x39e9, -v128
	v_add_f16_e32 v76, v85, v76
	v_mul_f16_e32 v85, 0x3b76, v44
	v_add_f16_e32 v72, v77, v72
	v_fma_f16 v77, v40, 0xb461, -v146
	v_add_f16_e32 v67, v68, v67
	v_fma_f16 v68, v39, 0x3722, -v130
	;; [unrolled: 2-line block ×5, first 2 shown]
	v_fmac_f16_e64 v151, 0x2de8, v21
	v_fma_f16 v38, v38, 0x3722, -v141
	v_pk_add_f16 v10, v10, v15
	v_add_f16_e32 v61, v61, v76
	v_add_f16_e32 v67, v68, v67
	v_fma_f16 v68, v42, 0x2de8, -v127
	v_add_f16_e32 v76, v85, v79
	v_add_f16_e32 v72, v77, v72
	v_fma_f16 v77, v41, 0x3722, -v150
	v_add_f16_e64 v79, v151, v6
	v_add_f16_e32 v67, v68, v67
	v_fma_f16 v68, v43, 0x3b76, -v135
	v_fmac_f16_e64 v154, 0xbbdd, v36
	v_add_f16_e32 v34, v38, v34
	v_fma_f16 v38, v18, 0xb8d2, -v160
	v_pk_add_f16 v10, v11, v10
	v_add_f16_e32 v67, v68, v67
	v_fma_f16 v68, v44, 0xb8d2, -v139
	v_fmac_f16_e64 v157, 0xb461, v20
	v_add_f16_e32 v34, v38, v34
	v_fma_f16 v40, v40, 0xbbdd, -v163
	v_pk_add_f16 v8, v8, v10
	v_add_f16_e32 v67, v68, v67
	v_add_f16_e32 v68, v77, v72
	v_fma_f16 v72, v42, 0xbacd, -v145
	v_add_f16_e64 v77, v154, v79
	v_fmac_f16_e64 v156, 0x3b76, v27
	v_add_f16_e32 v34, v40, v34
	v_fma_f16 v15, v39, 0xb461, -v165
	v_add_f16_e32 v68, v72, v68
	v_fma_f16 v72, v43, 0xb8d2, -v142
	v_add_f16_e64 v77, v157, v77
	v_pk_add_f16 v8, v9, v8
	v_fmac_f16_e64 v161, 0x3722, v30
	v_add_f16_e32 v11, v15, v34
	v_add_f16_e32 v68, v72, v68
	v_add_f16_e64 v72, v156, v77
	v_fma_f16 v15, v41, 0x39e9, -v167
	v_pk_add_f16 v4, v4, v8
	v_fmac_f16_e64 v164, 0xbacd, v31
	v_fmac_f16_e64 v137, 0xbacd, v36
	v_add_f16_e64 v72, v161, v72
	v_add_f16_e32 v10, v15, v11
	v_fma_f16 v11, v42, 0x3b76, -v169
	v_pk_add_f16 v4, v5, v4
	v_fmac_f16_e32 v74, 0xb8d2, v36
	v_add_f16_e64 v36, v164, v72
	v_fmac_f16_e64 v166, 0xb8d2, v33
	v_add_f16_e32 v10, v11, v10
	v_fma_f16 v11, v43, 0x2de8, -v170
	v_pk_add_f16 v2, v2, v4
	v_fmac_f16_e64 v168, 0x39e9, v37
	v_add_f16_e64 v9, v166, v36
	v_fma_f16 v5, v44, 0xbacd, -v172
	v_add_f16_e32 v8, v11, v10
	v_pk_add_f16 v2, v3, v2
	v_and_b32_e32 v3, 0xffff, v56
	v_add_f16_e64 v4, v168, v9
	v_pk_mul_f16 v9, 0xbbdd, v21 op_sel_hi:[0,1]
	v_add_f16_e32 v5, v5, v8
	v_pk_add_f16 v8, v45, v70
	v_pk_add_f16 v0, v0, v2
	v_add_lshl_u32 v2, v16, v3, 2
	v_pk_mul_f16 v11, 0x35c8, v22 op_sel_hi:[0,1]
	v_fmac_f16_e64 v134, 0xb461, v21
	v_pk_add_f16 v3, v46, v8
	v_pk_fma_f16 v8, 0xb1e1, v12, v9 op_sel:[0,0,1] op_sel_hi:[0,1,0] neg_lo:[0,1,0] neg_hi:[0,1,0]
	v_pk_add_f16 v0, v1, v0
	v_pk_fma_f16 v1, 0xb1e1, v12, v9 op_sel:[0,0,1] op_sel_hi:[0,1,0]
	v_fmac_f16_e64 v171, 0x3722, v21
	v_pk_fma_f16 v9, 0x3b76, v18, v11 op_sel_hi:[0,1,1] neg_lo:[0,0,1] neg_hi:[0,0,1]
	v_pk_add_f16 v8, v8, v70
	v_pk_mul_f16 v12, 0xbacd, v20 op_sel_hi:[0,1]
	v_pk_add_f16 v1, v1, v70
	v_pk_fma_f16 v11, 0x3b76, v18, v11 op_sel_hi:[0,1,1]
	v_add_f16_e64 v69, v134, v6
	v_add_f16_e64 v6, v171, v6
	v_pk_add_f16 v8, v9, v8
	v_pk_fma_f16 v9, 0xb836, v19, v12 op_sel:[0,0,1] op_sel_hi:[0,1,0] neg_lo:[0,1,0] neg_hi:[0,1,0]
	v_pk_mul_f16 v15, 0x39e9, v27 op_sel_hi:[0,1]
	v_pk_add_f16 v1, v11, v1
	v_pk_fma_f16 v11, 0xb836, v19, v12 op_sel:[0,0,1] op_sel_hi:[0,1,0]
	v_add_f16_e64 v69, v137, v69
	v_fmac_f16_e64 v138, 0x39e9, v20
	v_add_f16_e32 v6, v74, v6
	v_fmac_f16_e32 v75, 0xbbdd, v20
	v_pk_add_f16 v3, v47, v3
	v_pk_add_f16 v8, v9, v8
	v_pk_fma_f16 v9, 0x3964, v23, v15 op_sel:[0,0,1] op_sel_hi:[0,1,0] neg_lo:[0,1,0] neg_hi:[0,1,0]
	v_pk_mul_f16 v12, 0xb8d2, v30 op_sel_hi:[0,1]
	v_pk_add_f16 v1, v11, v1
	v_pk_fma_f16 v11, 0x3964, v23, v15 op_sel:[0,0,1] op_sel_hi:[0,1,0]
	v_add_f16_e64 v69, v138, v69
	v_fmac_f16_e64 v136, 0x3722, v27
	v_add_f16_e32 v6, v75, v6
	v_fmac_f16_e32 v78, 0xb461, v27
	v_pk_add_f16 v3, v53, v3
	v_pk_add_f16 v8, v9, v8
	v_pk_fma_f16 v9, 0xba62, v28, v12 op_sel:[0,0,1] op_sel_hi:[0,1,0] neg_lo:[0,1,0] neg_hi:[0,1,0]
	v_pk_mul_f16 v15, 0x3722, v31 op_sel_hi:[0,1]
	v_pk_add_f16 v1, v11, v1
	v_pk_fma_f16 v11, 0xba62, v28, v12 op_sel:[0,0,1] op_sel_hi:[0,1,0]
	v_fmac_f16_e32 v108, 0x3b76, v30
	v_add_f16_e64 v69, v136, v69
	v_fmac_f16_e64 v144, 0xbbdd, v30
	v_add_f16_e32 v6, v78, v6
	v_fmac_f16_e32 v80, 0x39e9, v30
	v_pk_add_f16 v3, v59, v3
	v_pk_add_f16 v8, v9, v8
	v_pk_fma_f16 v9, 0x3b29, v29, v15 op_sel:[0,0,1] op_sel_hi:[0,1,0] neg_lo:[0,1,0] neg_hi:[0,1,0]
	v_pk_mul_f16 v12, 0xb461, v33 op_sel_hi:[0,1]
	v_pk_add_f16 v1, v11, v1
	v_pk_fma_f16 v11, 0x3b29, v29, v15 op_sel:[0,0,1] op_sel_hi:[0,1,0]
	v_add_f16_e32 v50, v108, v50
	v_fmac_f16_e32 v112, 0xbbdd, v31
	v_add_f16_e64 v69, v144, v69
	v_fmac_f16_e64 v147, 0x2de8, v31
	v_add_f16_e32 v6, v80, v6
	v_fmac_f16_e32 v83, 0x3b76, v31
	v_pk_add_f16 v3, v63, v3
	v_pk_add_f16 v8, v9, v8
	v_pk_fma_f16 v9, 0xbbb2, v32, v12 op_sel:[0,0,1] op_sel_hi:[0,1,0] neg_lo:[0,1,0] neg_hi:[0,1,0]
	v_pk_mul_f16 v15, 0x2de8, v37 op_sel_hi:[0,1]
	v_pk_add_f16 v1, v11, v1
	v_pk_fma_f16 v11, 0xbbb2, v32, v12 op_sel:[0,0,1] op_sel_hi:[0,1,0]
	v_add_f16_e32 v50, v112, v50
	v_fmac_f16_e32 v114, 0x39e9, v33
	v_fmac_f16_e64 v131, 0xbbdd, v33
	v_bfi_b32 v65, 0xffff, v81, v82
	v_add_f16_e64 v69, v147, v69
	v_fmac_f16_e64 v149, 0x3b76, v33
	v_add_f16_e32 v6, v83, v6
	v_fmac_f16_e32 v60, 0x2de8, v33
	v_pk_add_f16 v3, v64, v3
	v_pk_add_f16 v8, v9, v8
	v_pk_fma_f16 v9, 0x3bf7, v35, v15 op_sel:[0,0,1] op_sel_hi:[0,1,0] neg_lo:[0,1,0] neg_hi:[0,1,0]
	v_pk_add_f16 v1, v11, v1
	v_pk_fma_f16 v11, 0x3bf7, v35, v15 op_sel:[0,0,1] op_sel_hi:[0,1,0]
	v_add_f16_e32 v50, v114, v50
	v_fmac_f16_e32 v117, 0xb461, v37
	v_add_f16_e64 v66, v131, v66
	v_fmac_f16_e64 v133, 0x3722, v37
	v_add_f16_e64 v69, v149, v69
	v_fmac_f16_e64 v152, 0xb8d2, v37
	v_fma_f16 v38, v44, 0x39e9, -v158
	v_add_f16_e32 v6, v60, v6
	v_fmac_f16_e32 v62, 0xbacd, v37
	v_pk_add_f16 v3, v65, v3
	v_pk_add_f16 v0, v17, v0
	v_pack_b32_f16 v7, v13, v7
	v_pk_add_f16 v8, v9, v8
	v_pk_add_f16 v1, v11, v1
	v_add_f16_e32 v50, v117, v50
	v_add_f16_e64 v66, v133, v66
	v_add_f16_e64 v69, v152, v69
	v_add_f16_e32 v10, v38, v68
	v_add_f16_e32 v6, v62, v6
	v_alignbit_b32 v12, v76, v3, 16
	v_pack_b32_f16 v3, v48, v3
	v_pack_b32_f16 v15, v71, v95
	;; [unrolled: 1-line block ×5, first 2 shown]
	ds_store_2addr_b32 v2, v0, v7 offset1:7
	v_alignbit_b32 v0, v8, v1, 16
	v_alignbit_b32 v1, v1, v8, 16
	v_pack_b32_f16 v7, v66, v55
	v_pack_b32_f16 v8, v50, v49
	;; [unrolled: 1-line block ×5, first 2 shown]
	v_perm_b32 v6, v58, v25, 0x5040100
	v_perm_b32 v14, v57, v26, 0x5040100
	ds_store_2addr_b32 v2, v3, v12 offset0:1 offset1:2
	ds_store_2addr_b32 v2, v9, v15 offset0:3 offset1:4
	;; [unrolled: 1-line block ×7, first 2 shown]
	ds_store_b32 v2, v14 offset:64
.LBB0_7:
	s_wait_alu 0xfffe
	s_or_b32 exec_lo, exec_lo, s0
	v_and_b32_e32 v0, 0xff, v52
	v_add_co_u32 v15, null, 0x55, v52
	v_add_co_u32 v14, null, 0xaa, v52
	s_delay_alu instid0(VALU_DEP_3) | instskip(NEXT) | instid1(VALU_DEP_3)
	v_mul_lo_u16 v0, 0xf1, v0
	v_and_b32_e32 v17, 0xff, v15
	v_add_co_u32 v4, null, 0x154, v52
	s_delay_alu instid0(VALU_DEP_4) | instskip(NEXT) | instid1(VALU_DEP_4)
	v_and_b32_e32 v18, 0xff, v14
	v_lshrrev_b16 v21, 12, v0
	v_add_co_u32 v0, null, 0xff, v52
	v_mul_lo_u16 v1, 0xf1, v17
	s_delay_alu instid0(VALU_DEP_4) | instskip(NEXT) | instid1(VALU_DEP_4)
	v_mul_lo_u16 v3, 0xf1, v18
	v_mul_lo_u16 v2, v21, 17
	s_load_b128 s[4:7], s[4:5], 0x0
	global_wb scope:SCOPE_SE
	s_wait_dscnt 0x0
	v_lshrrev_b16 v22, 12, v1
	v_and_b32_e32 v1, 0xffff, v0
	v_sub_nc_u16 v2, v52, v2
	v_lshrrev_b16 v23, 12, v3
	v_and_b32_e32 v3, 0xffff, v4
	v_mul_lo_u16 v5, v22, 17
	v_mul_u32_u24_e32 v1, 0xf0f1, v1
	v_and_b32_e32 v37, 0xff, v2
	v_mul_lo_u16 v2, v23, 17
	v_mul_u32_u24_e32 v3, 0xf0f1, v3
	v_sub_nc_u16 v5, v15, v5
	v_lshrrev_b32_e32 v38, 20, v1
	v_lshlrev_b32_e32 v1, 3, v37
	v_sub_nc_u16 v2, v14, v2
	v_lshrrev_b32_e32 v39, 20, v3
	v_and_b32_e32 v40, 0xff, v5
	v_mul_lo_u16 v3, v38, 17
	s_wait_kmcnt 0x0
	s_barrier_signal -1
	v_and_b32_e32 v46, 0xff, v2
	s_barrier_wait -1
	v_lshlrev_b32_e32 v2, 3, v40
	v_sub_nc_u16 v47, v0, v3
	global_inv scope:SCOPE_SE
	v_lshlrev_b32_e32 v0, 3, v46
	s_clause 0x1
	global_load_b64 v[35:36], v1, s[2:3]
	global_load_b64 v[33:34], v2, s[2:3]
	v_add_lshl_u32 v55, v16, v52, 2
	v_mul_lo_u16 v50, 0xa1, v17
	global_load_b64 v[31:32], v0, s[2:3]
	v_mul_lo_u16 v1, v39, 17
	v_mul_lo_u16 v53, 0xa1, v18
	v_add_nc_u32_e32 v42, 0x400, v55
	v_add_nc_u32_e32 v41, 0xc00, v55
	;; [unrolled: 1-line block ×3, first 2 shown]
	v_sub_nc_u16 v48, v4, v1
	v_lshlrev_b16 v1, 1, v47
	v_add_co_u32 v4, s0, 0xffffffcd, v52
	s_wait_alu 0xf1ff
	v_add_co_ci_u32_e64 v5, null, 0, -1, s0
	v_lshlrev_b16 v0, 1, v48
	v_and_b32_e32 v1, 0xffff, v1
	v_cmp_gt_u16_e64 s0, 51, v52
	v_add_nc_u32_e32 v44, 0xe00, v55
	v_add_nc_u32_e32 v45, 0x800, v55
	v_and_b32_e32 v0, 0xffff, v0
	v_lshlrev_b32_e32 v1, 2, v1
	s_wait_alu 0xf1ff
	v_cndmask_b32_e64 v13, v5, 0, s0
	v_cndmask_b32_e64 v12, v4, v52, s0
	v_and_b32_e32 v22, 0xffff, v22
	v_lshlrev_b32_e32 v0, 2, v0
	s_clause 0x1
	global_load_b64 v[29:30], v1, s[2:3]
	global_load_b64 v[27:28], v0, s[2:3]
	ds_load_2addr_b32 v[0:1], v55 offset1:85
	ds_load_2addr_b32 v[2:3], v55 offset0:170 offset1:255
	ds_load_b32 v49, v55 offset:4760
	ds_load_2addr_b32 v[4:5], v42 offset0:84 offset1:169
	ds_load_2addr_b32 v[6:7], v41 offset0:82 offset1:167
	;; [unrolled: 1-line block ×4, first 2 shown]
	v_lshlrev_b64_e32 v[17:18], 4, v[12:13]
	v_and_b32_e32 v13, 0xffff, v21
	ds_load_2addr_b32 v[19:20], v45 offset0:168 offset1:253
	v_lshrrev_b16 v21, 13, v50
	v_lshrrev_b16 v50, 13, v53
	v_and_b32_e32 v23, 0xffff, v23
	v_mul_u32_u24_e32 v13, 51, v13
	v_mul_u32_u24_e32 v22, 51, v22
	v_mul_lo_u16 v53, v21, 51
	v_mul_lo_u16 v59, v50, 51
	v_mul_u32_u24_e32 v23, 51, v23
	v_add_nc_u32_e32 v13, v13, v37
	v_mad_u16 v37, v38, 51, v47
	v_mad_u16 v38, v39, 51, v48
	v_sub_nc_u16 v59, v14, v59
	v_sub_nc_u16 v53, v15, v53
	s_wait_dscnt 0x4
	v_lshrrev_b32_e32 v68, 16, v5
	s_wait_dscnt 0x3
	v_lshrrev_b32_e32 v69, 16, v6
	v_add_lshl_u32 v62, v16, v13, 2
	v_add_nc_u32_e32 v13, v22, v40
	v_add_nc_u32_e32 v22, v23, v46
	v_and_b32_e32 v23, 0xffff, v37
	v_and_b32_e32 v37, 0xffff, v38
	s_wait_dscnt 0x2
	v_lshrrev_b32_e32 v79, 16, v8
	v_lshrrev_b32_e32 v80, 16, v7
	;; [unrolled: 1-line block ×3, first 2 shown]
	s_wait_dscnt 0x1
	v_lshrrev_b32_e32 v82, 16, v10
	v_and_b32_e32 v48, 0xff, v59
	v_add_lshl_u32 v63, v16, v13, 2
	v_add_lshl_u32 v61, v16, v22, 2
	;; [unrolled: 1-line block ×4, first 2 shown]
	v_lshrrev_b32_e32 v64, 16, v0
	v_lshrrev_b32_e32 v78, 16, v49
	s_wait_dscnt 0x0
	v_lshrrev_b32_e32 v83, 16, v19
	v_lshrrev_b32_e32 v84, 16, v11
	;; [unrolled: 1-line block ×3, first 2 shown]
	v_and_b32_e32 v47, 0xff, v53
	v_lshrrev_b32_e32 v65, 16, v1
	v_lshrrev_b32_e32 v66, 16, v2
	;; [unrolled: 1-line block ×4, first 2 shown]
	global_wb scope:SCOPE_SE
	s_wait_loadcnt 0x0
	s_barrier_signal -1
	s_barrier_wait -1
	global_inv scope:SCOPE_SE
	v_add_co_u32 v17, s0, s2, v17
	s_wait_alu 0xf1ff
	v_add_co_ci_u32_e64 v18, s0, s3, v18, s0
	v_lshlrev_b32_e32 v38, 4, v47
	v_cmp_lt_u16_e64 s0, 50, v52
	v_lshlrev_b32_e32 v15, 4, v15
	v_lshrrev_b32_e32 v77, 16, v35
	v_lshrrev_b32_e32 v75, 16, v36
	;; [unrolled: 1-line block ×5, first 2 shown]
	v_mul_f16_e32 v13, v68, v77
	v_mul_f16_e32 v22, v5, v77
	;; [unrolled: 1-line block ×4, first 2 shown]
	v_lshrrev_b32_e32 v70, 16, v32
	v_fma_f16 v5, v5, v35, -v13
	v_fmac_f16_e32 v22, v68, v35
	v_fma_f16 v6, v6, v36, -v23
	v_fmac_f16_e32 v37, v69, v36
	v_mul_f16_e32 v13, v79, v76
	v_mul_f16_e32 v23, v8, v76
	;; [unrolled: 1-line block ×8, first 2 shown]
	v_fma_f16 v8, v8, v33, -v13
	v_fmac_f16_e32 v23, v79, v33
	v_fma_f16 v7, v7, v34, -v39
	v_fmac_f16_e32 v40, v80, v34
	;; [unrolled: 2-line block ×3, first 2 shown]
	v_fma_f16 v10, v10, v32, -v87
	v_lshrrev_b32_e32 v73, 16, v29
	v_lshrrev_b32_e32 v71, 16, v30
	;; [unrolled: 1-line block ×4, first 2 shown]
	v_fmac_f16_e32 v88, v82, v32
	v_mul_f16_e32 v13, v83, v73
	v_mul_f16_e32 v39, v19, v73
	v_mul_f16_e32 v46, v84, v71
	v_mul_f16_e32 v79, v11, v71
	v_mul_f16_e32 v80, v86, v69
	v_mul_f16_e32 v82, v78, v68
	v_mul_f16_e32 v87, v49, v68
	v_add_f16_e32 v90, v5, v6
	v_sub_f16_e32 v91, v22, v37
	v_add_f16_e32 v92, v64, v22
	v_add_f16_e32 v22, v22, v37
	v_mul_f16_e32 v81, v20, v69
	v_add_f16_e32 v89, v0, v5
	v_sub_f16_e32 v5, v5, v6
	v_fma_f16 v13, v19, v29, -v13
	v_fmac_f16_e32 v39, v83, v29
	v_fma_f16 v11, v11, v30, -v46
	v_fmac_f16_e32 v79, v84, v30
	v_fma_f16 v19, v20, v27, -v80
	v_fma_f16 v20, v49, v28, -v82
	v_fmac_f16_e32 v87, v78, v28
	v_fma_f16 v0, -0.5, v90, v0
	v_fmac_f16_e32 v64, -0.5, v22
	v_add_f16_e32 v22, v1, v8
	v_add_f16_e32 v46, v8, v7
	v_sub_f16_e32 v49, v23, v40
	v_add_f16_e32 v78, v65, v23
	v_add_f16_e32 v23, v23, v40
	v_sub_f16_e32 v83, v53, v88
	v_add_f16_e32 v84, v66, v53
	v_add_f16_e32 v53, v53, v88
	v_fmac_f16_e32 v81, v86, v27
	v_add_f16_e32 v80, v2, v9
	v_add_f16_e32 v82, v9, v10
	;; [unrolled: 1-line block ×4, first 2 shown]
	v_sub_f16_e32 v8, v8, v7
	v_fmamk_f16 v86, v91, 0x3aee, v0
	v_fmamk_f16 v89, v5, 0xbaee, v64
	v_fmac_f16_e32 v64, 0x3aee, v5
	v_add_f16_e32 v5, v22, v7
	v_fmac_f16_e32 v1, -0.5, v46
	v_add_f16_e32 v7, v78, v40
	v_fmac_f16_e32 v65, -0.5, v23
	v_fmac_f16_e32 v66, -0.5, v53
	v_add_f16_e32 v40, v13, v11
	v_sub_f16_e32 v46, v39, v79
	v_add_f16_e32 v53, v67, v39
	v_add_f16_e32 v39, v39, v79
	v_fmac_f16_e32 v0, 0xbaee, v91
	v_sub_f16_e32 v9, v9, v10
	v_add_f16_e32 v10, v80, v10
	v_fma_f16 v2, -0.5, v82, v2
	v_add_f16_e32 v22, v84, v88
	v_add_f16_e32 v80, v19, v20
	v_sub_f16_e32 v82, v81, v87
	v_add_f16_e32 v84, v85, v81
	v_add_f16_e32 v81, v81, v87
	v_add_f16_e32 v23, v3, v13
	v_sub_f16_e32 v13, v13, v11
	v_pack_b32_f16 v6, v6, v37
	v_fmamk_f16 v37, v49, 0x3aee, v1
	v_fmac_f16_e32 v1, 0xbaee, v49
	v_fmamk_f16 v49, v8, 0xbaee, v65
	v_fmac_f16_e32 v3, -0.5, v40
	v_fmac_f16_e32 v67, -0.5, v39
	v_pack_b32_f16 v39, v86, v89
	v_fmac_f16_e32 v65, 0x3aee, v8
	v_pack_b32_f16 v0, v0, v64
	v_add_f16_e32 v78, v4, v19
	v_sub_f16_e32 v19, v19, v20
	v_fmamk_f16 v8, v83, 0x3aee, v2
	v_fmac_f16_e32 v2, 0xbaee, v83
	v_fmamk_f16 v83, v9, 0xbaee, v66
	v_fmac_f16_e32 v4, -0.5, v80
	v_fmac_f16_e32 v85, -0.5, v81
	v_fmac_f16_e32 v66, 0x3aee, v9
	v_add_f16_e32 v9, v23, v11
	v_add_f16_e32 v11, v53, v79
	v_pack_b32_f16 v5, v5, v7
	v_pack_b32_f16 v7, v10, v22
	v_fmamk_f16 v10, v46, 0x3aee, v3
	v_fmamk_f16 v22, v13, 0xbaee, v67
	ds_store_2addr_b32 v62, v6, v39 offset1:17
	ds_store_b32 v62, v0 offset:136
	v_pack_b32_f16 v0, v37, v49
	v_fmac_f16_e32 v3, 0xbaee, v46
	v_fmac_f16_e32 v67, 0x3aee, v13
	v_pack_b32_f16 v1, v1, v65
	v_add_f16_e32 v20, v78, v20
	v_add_f16_e32 v23, v84, v87
	v_fmamk_f16 v13, v82, 0x3aee, v4
	v_fmamk_f16 v40, v19, 0xbaee, v85
	v_pack_b32_f16 v6, v8, v83
	v_fmac_f16_e32 v4, 0xbaee, v82
	v_fmac_f16_e32 v85, 0x3aee, v19
	v_pack_b32_f16 v2, v2, v66
	v_pack_b32_f16 v8, v9, v11
	ds_store_2addr_b32 v63, v5, v0 offset1:17
	ds_store_b32 v63, v1 offset:136
	ds_store_2addr_b32 v61, v7, v6 offset1:17
	v_pack_b32_f16 v0, v10, v22
	v_pack_b32_f16 v1, v3, v67
	;; [unrolled: 1-line block ×5, first 2 shown]
	ds_store_b32 v61, v2 offset:136
	ds_store_2addr_b32 v60, v8, v0 offset1:17
	ds_store_b32 v60, v1 offset:136
	ds_store_2addr_b32 v59, v9, v3 offset1:17
	ds_store_b32 v59, v4 offset:136
	global_wb scope:SCOPE_SE
	s_wait_dscnt 0x0
	s_barrier_signal -1
	s_barrier_wait -1
	global_inv scope:SCOPE_SE
	global_load_b128 v[8:11], v[17:18], off offset:136
	v_lshlrev_b32_e32 v0, 4, v48
	s_clause 0x1
	global_load_b128 v[4:7], v38, s[2:3] offset:136
	global_load_b128 v[0:3], v0, s[2:3] offset:136
	v_and_b32_e32 v17, 0xffff, v21
	s_wait_alu 0xf1ff
	v_cndmask_b32_e64 v13, 0, 0xff, s0
	v_and_b32_e32 v39, 0xffff, v50
	v_lshlrev_b32_e32 v53, 4, v52
	v_mul_u32_u24_e32 v46, 0xff, v17
	s_delay_alu instid0(VALU_DEP_4)
	v_add_nc_u32_e32 v23, v12, v13
	ds_load_2addr_b32 v[12:13], v55 offset1:85
	ds_load_2addr_b32 v[17:18], v55 offset0:170 offset1:255
	ds_load_2addr_b32 v[19:20], v43 offset0:126 offset1:211
	ds_load_2addr_b32 v[21:22], v45 offset0:168 offset1:253
	ds_load_2addr_b32 v[37:38], v44 offset0:124 offset1:209
	v_mul_u32_u24_e32 v49, 0xff, v39
	ds_load_2addr_b32 v[39:40], v42 offset0:84 offset1:169
	v_add_nc_u32_e32 v50, v46, v47
	ds_load_2addr_b32 v[46:47], v41 offset0:82 offset1:167
	v_add_lshl_u32 v66, v16, v23, 2
	ds_load_b32 v23, v55 offset:4760
	v_add_nc_u32_e32 v48, v49, v48
	v_add_lshl_u32 v65, v16, v50, 2
	global_wb scope:SCOPE_SE
	s_wait_loadcnt_dscnt 0x0
	s_barrier_signal -1
	s_barrier_wait -1
	v_add_lshl_u32 v64, v16, v48, 2
	global_inv scope:SCOPE_SE
	v_lshrrev_b32_e32 v16, 16, v12
	v_lshrrev_b32_e32 v48, 16, v18
	v_lshrrev_b32_e32 v49, 16, v19
	v_lshrrev_b32_e32 v50, 16, v22
	v_lshrrev_b32_e32 v67, 16, v37
	v_lshrrev_b32_e32 v92, 16, v20
	v_lshrrev_b32_e32 v91, 16, v39
	v_lshrrev_b32_e32 v94, 16, v38
	v_lshrrev_b32_e32 v93, 16, v46
	v_lshrrev_b32_e32 v96, 16, v40
	v_lshrrev_b32_e32 v97, 16, v21
	v_lshrrev_b32_e32 v98, 16, v47
	v_lshrrev_b32_e32 v99, 16, v23
	v_lshrrev_b32_e32 v90, 16, v13
	v_lshrrev_b32_e32 v95, 16, v17
	v_lshrrev_b32_e32 v89, 16, v8
	v_lshrrev_b32_e32 v88, 16, v9
	v_lshrrev_b32_e32 v87, 16, v10
	v_lshrrev_b32_e32 v86, 16, v11
	v_lshrrev_b32_e32 v85, 16, v4
	v_lshrrev_b32_e32 v84, 16, v5
	v_lshrrev_b32_e32 v83, 16, v6
	v_lshrrev_b32_e32 v82, 16, v7
	v_lshrrev_b32_e32 v81, 16, v0
	v_lshrrev_b32_e32 v80, 16, v1
	v_lshrrev_b32_e32 v79, 16, v2
	v_lshrrev_b32_e32 v78, 16, v3
	v_mul_f16_e32 v100, v48, v89
	v_mul_f16_e32 v101, v18, v89
	;; [unrolled: 1-line block ×24, first 2 shown]
	v_fma_f16 v18, v18, v8, -v100
	v_fmac_f16_e32 v101, v48, v8
	v_fma_f16 v19, v19, v9, -v102
	v_fmac_f16_e32 v103, v49, v9
	;; [unrolled: 2-line block ×12, first 2 shown]
	v_add_f16_e32 v48, v12, v18
	v_add_f16_e32 v49, v19, v22
	v_sub_f16_e32 v91, v18, v19
	v_sub_f16_e32 v92, v37, v22
	v_add_f16_e32 v93, v18, v37
	v_add_f16_e32 v97, v16, v101
	v_add_f16_e32 v98, v103, v105
	v_add_f16_e32 v104, v101, v107
	v_sub_f16_e32 v50, v101, v107
	v_sub_f16_e32 v94, v19, v18
	;; [unrolled: 1-line block ×7, first 2 shown]
	v_add_f16_e32 v108, v13, v39
	v_add_f16_e32 v110, v20, v46
	;; [unrolled: 1-line block ×5, first 2 shown]
	v_add_f16_e64 v130, v109, v115
	v_sub_f16_e32 v18, v18, v37
	v_sub_f16_e32 v99, v19, v22
	v_add_f16_e64 v132, v17, v40
	v_add_f16_e64 v133, v21, v47
	;; [unrolled: 1-line block ×6, first 2 shown]
	v_add_f16_e32 v19, v48, v19
	v_fma_f16 v48, -0.5, v49, v12
	v_add_f16_e32 v49, v91, v92
	v_fma_f16 v12, -0.5, v93, v12
	;; [unrolled: 2-line block ×3, first 2 shown]
	v_sub_f16_e32 v67, v103, v105
	v_sub_f16_e32 v116, v39, v20
	;; [unrolled: 1-line block ×3, first 2 shown]
	v_fmac_f16_e32 v16, -0.5, v104
	v_sub_f16_e32 v112, v109, v115
	v_sub_f16_e32 v122, v20, v39
	;; [unrolled: 1-line block ×4, first 2 shown]
	v_add_f16_e32 v91, v94, v96
	v_add_f16_e32 v94, v100, v102
	;; [unrolled: 1-line block ×4, first 2 shown]
	v_fma_f16 v97, -0.5, v110, v13
	v_add_f16_e32 v101, v125, v111
	v_fma_f16 v102, -0.5, v126, v90
	v_sub_f16_e32 v114, v111, v113
	v_sub_f16_e32 v124, v46, v38
	v_fmac_f16_e32 v13, -0.5, v120
	v_fmac_f16_e64 v90, -0.5, v130
	v_sub_f16_e64 v128, v109, v111
	v_sub_f16_e32 v109, v111, v109
	v_sub_f16_e64 v134, v117, v123
	v_sub_f16_e64 v135, v119, v121
	;; [unrolled: 1-line block ×4, first 2 shown]
	v_sub_f16_e32 v40, v40, v23
	v_sub_f16_e64 v143, v21, v47
	v_add_f16_e64 v21, v132, v21
	v_fma_f16 v106, -0.5, v133, v17
	v_fmac_f16_e64 v17, -0.5, v138
	v_add_f16_e64 v110, v141, v119
	v_fma_f16 v111, -0.5, v142, v95
	v_fmac_f16_e64 v95, -0.5, v146
	v_add_f16_e32 v19, v19, v22
	v_fmamk_f16 v22, v50, 0x3b9c, v48
	v_add_f16_e32 v92, v92, v105
	v_fmamk_f16 v105, v18, 0xbb9c, v93
	v_sub_f16_e64 v144, v117, v119
	v_sub_f16_e32 v117, v119, v117
	v_add_f16_e32 v98, v116, v118
	v_fmamk_f16 v118, v67, 0xbb9c, v12
	v_fmac_f16_e32 v12, 0x3b9c, v67
	v_fmamk_f16 v119, v99, 0x3b9c, v16
	v_fmac_f16_e32 v16, 0xbb9c, v99
	v_fmac_f16_e32 v48, 0xbb9c, v50
	v_fmac_f16_e32 v93, 0x3b9c, v18
	v_sub_f16_e64 v129, v115, v113
	v_sub_f16_e64 v131, v113, v115
	v_add_f16_e32 v20, v20, v46
	v_fmamk_f16 v46, v112, 0x3b9c, v97
	v_add_f16_e32 v101, v101, v113
	v_fmamk_f16 v113, v39, 0xbb9c, v102
	;; [unrolled: 2-line block ×3, first 2 shown]
	v_fmac_f16_e32 v13, 0x3b9c, v114
	v_fmamk_f16 v122, v127, 0x3b9c, v90
	v_fmac_f16_e32 v90, 0xbb9c, v127
	v_sub_f16_e64 v137, v23, v47
	v_sub_f16_e64 v140, v47, v23
	;; [unrolled: 1-line block ×4, first 2 shown]
	v_fmac_f16_e32 v97, 0xbb9c, v112
	v_fmac_f16_e32 v102, 0x3b9c, v39
	v_add_f16_e32 v21, v21, v47
	v_fma_f16 v47, 0x3b9c, v134, v106
	v_fmac_f16_e64 v106, 0xbb9c, v134
	v_fma_f16 v124, 0xbb9c, v135, v17
	v_fmac_f16_e64 v17, 0x3b9c, v135
	v_add_f16_e32 v110, v110, v121
	v_fmamk_f16 v121, v40, 0xbb9c, v111
	v_fmac_f16_e32 v111, 0x3b9c, v40
	v_fma_f16 v125, 0x3b9c, v143, v95
	v_fmac_f16_e64 v95, 0xbb9c, v143
	v_fmac_f16_e32 v22, 0x38b4, v67
	v_fmac_f16_e32 v105, 0xb8b4, v99
	v_fmac_f16_e32 v118, 0x38b4, v50
	v_fmac_f16_e32 v12, 0xb8b4, v50
	v_fmac_f16_e32 v119, 0xb8b4, v18
	v_fmac_f16_e32 v16, 0x38b4, v18
	v_fmac_f16_e32 v48, 0xb8b4, v67
	v_fmac_f16_e32 v93, 0x38b4, v99
	v_add_f16_e64 v103, v128, v129
	v_fmac_f16_e32 v46, 0x38b4, v114
	v_fmac_f16_e32 v113, 0xb8b4, v127
	v_add_f16_e64 v104, v109, v131
	v_fmac_f16_e32 v120, 0x38b4, v112
	v_fmac_f16_e32 v13, 0xb8b4, v112
	;; [unrolled: 1-line block ×4, first 2 shown]
	v_add_f16_e64 v108, v136, v137
	v_add_f16_e64 v109, v139, v140
	;; [unrolled: 1-line block ×4, first 2 shown]
	v_add_f16_e32 v19, v19, v37
	v_add_f16_e32 v37, v92, v107
	;; [unrolled: 1-line block ×3, first 2 shown]
	v_fmac_f16_e32 v97, 0xb8b4, v114
	v_add_f16_e32 v20, v101, v115
	v_fmac_f16_e32 v102, 0x38b4, v127
	v_add_f16_e32 v21, v21, v23
	v_fmac_f16_e64 v47, 0x38b4, v135
	v_fmac_f16_e64 v106, 0xb8b4, v135
	;; [unrolled: 1-line block ×4, first 2 shown]
	v_add_f16_e32 v23, v110, v123
	v_fmac_f16_e64 v121, 0xb8b4, v143
	v_fmac_f16_e64 v111, 0x38b4, v143
	v_fmac_f16_e32 v125, 0xb8b4, v40
	v_fmac_f16_e32 v95, 0x38b4, v40
	;; [unrolled: 1-line block ×26, first 2 shown]
	v_pack_b32_f16 v19, v19, v37
	v_pack_b32_f16 v18, v18, v20
	;; [unrolled: 1-line block ×15, first 2 shown]
	ds_store_2addr_b32 v66, v19, v21 offset1:51
	ds_store_2addr_b32 v66, v22, v12 offset0:102 offset1:153
	ds_store_b32 v66, v16 offset:816
	ds_store_2addr_b32 v65, v18, v23 offset1:51
	ds_store_2addr_b32 v65, v37, v13 offset0:102 offset1:153
	ds_store_b32 v65, v38 offset:816
	;; [unrolled: 3-line block ×3, first 2 shown]
	v_lshlrev_b32_e32 v12, 4, v14
	global_wb scope:SCOPE_SE
	s_wait_dscnt 0x0
	s_barrier_signal -1
	s_barrier_wait -1
	global_inv scope:SCOPE_SE
	s_clause 0x2
	global_load_b128 v[20:23], v53, s[2:3] offset:952
	global_load_b128 v[16:19], v15, s[2:3] offset:952
	;; [unrolled: 1-line block ×3, first 2 shown]
	ds_load_2addr_b32 v[39:40], v55 offset1:85
	ds_load_2addr_b32 v[37:38], v55 offset0:170 offset1:255
	ds_load_2addr_b32 v[46:47], v43 offset0:126 offset1:211
	;; [unrolled: 1-line block ×6, first 2 shown]
	ds_load_b32 v45, v55 offset:4760
	v_lshl_add_u32 v53, v52, 2, v54
	v_lshl_add_u32 v67, v52, 2, v54
	s_delay_alu instid0(VALU_DEP_2)
	v_add_nc_u32_e32 v102, 0x200, v53
	v_add_nc_u32_e32 v103, 0x400, v53
	;; [unrolled: 1-line block ×6, first 2 shown]
	s_wait_dscnt 0x7
	v_lshrrev_b32_e32 v107, 16, v39
	s_wait_dscnt 0x6
	v_lshrrev_b32_e32 v50, 16, v38
	;; [unrolled: 2-line block ×5, first 2 shown]
	v_lshrrev_b32_e32 v113, 16, v47
	s_wait_dscnt 0x1
	v_lshrrev_b32_e32 v114, 16, v41
	v_lshrrev_b32_e32 v112, 16, v104
	;; [unrolled: 1-line block ×6, first 2 shown]
	s_wait_dscnt 0x0
	v_lshrrev_b32_e32 v119, 16, v45
	v_lshrrev_b32_e32 v108, 16, v40
	v_lshrrev_b32_e32 v106, 16, v37
	s_wait_loadcnt 0x2
	v_lshrrev_b32_e32 v101, 16, v20
	v_lshrrev_b32_e32 v100, 16, v21
	v_lshrrev_b32_e32 v99, 16, v22
	v_lshrrev_b32_e32 v98, 16, v23
	s_wait_loadcnt 0x1
	v_lshrrev_b32_e32 v97, 16, v16
	;; [unrolled: 5-line block ×3, first 2 shown]
	v_lshrrev_b32_e32 v92, 16, v13
	v_lshrrev_b32_e32 v91, 16, v14
	;; [unrolled: 1-line block ×3, first 2 shown]
	v_mul_f16_e32 v124, v50, v101
	v_mul_f16_e32 v125, v38, v101
	;; [unrolled: 1-line block ×4, first 2 shown]
	v_mul_f16_e64 v128, v110, v99
	v_mul_f16_e64 v129, v49, v99
	;; [unrolled: 1-line block ×20, first 2 shown]
	v_fma_f16 v38, v38, v20, -v124
	v_fmac_f16_e32 v125, v50, v20
	v_fma_f16 v46, v46, v21, -v126
	v_fmac_f16_e32 v127, v109, v21
	v_fma_f16 v49, v49, v22, -v128
	v_fmac_f16_e64 v129, v110, v22
	v_fma_f16 v124, v43, v23, -v130
	v_fmac_f16_e64 v133, v112, v16
	;; [unrolled: 2-line block ×4, first 2 shown]
	v_fmac_f16_e64 v131, v111, v23
	v_fma_f16 v43, v104, v16, -v132
	v_fma_f16 v126, v44, v19, -v138
	v_fmac_f16_e64 v139, v115, v19
	v_fma_f16 v41, v105, v12, -v140
	v_fmac_f16_e64 v141, v116, v12
	;; [unrolled: 2-line block ×5, first 2 shown]
	v_add_f16_e32 v42, v39, v38
	v_add_f16_e32 v45, v46, v49
	v_sub_f16_e32 v48, v38, v46
	v_sub_f16_e32 v109, v124, v49
	v_add_f16_e32 v110, v38, v124
	v_sub_f16_e32 v111, v46, v38
	v_sub_f16_e32 v112, v49, v124
	v_add_f16_e32 v113, v107, v125
	v_add_f16_e64 v114, v127, v129
	v_add_f16_e64 v134, v47, v50
	;; [unrolled: 1-line block ×7, first 2 shown]
	v_sub_f16_e32 v119, v38, v124
	v_sub_f16_e32 v38, v125, v127
	v_sub_f16_e64 v115, v131, v129
	v_add_f16_e64 v132, v40, v43
	v_add_f16_e64 v156, v37, v41
	;; [unrolled: 1-line block ×7, first 2 shown]
	v_sub_f16_e64 v105, v125, v131
	v_sub_f16_e64 v116, v127, v129
	;; [unrolled: 1-line block ×12, first 2 shown]
	v_add_f16_e32 v46, v42, v46
	v_fma_f16 v42, -0.5, v45, v39
	v_add_f16_e64 v173, v48, v109
	v_fma_f16 v41, -0.5, v110, v39
	v_add_f16_e64 v174, v111, v112
	v_add_f16_e32 v39, v113, v127
	v_fma_f16 v109, -0.5, v114, v107
	v_fma_f16 v45, -0.5, v134, v40
	v_add_f16_e64 v112, v149, v135
	v_fma_f16 v111, -0.5, v150, v108
	v_sub_f16_e32 v118, v127, v125
	v_sub_f16_e64 v125, v129, v131
	v_sub_f16_e64 v138, v135, v137
	;; [unrolled: 1-line block ×3, first 2 shown]
	v_fmac_f16_e32 v107, -0.5, v117
	v_fmac_f16_e64 v40, -0.5, v144
	v_fmac_f16_e64 v108, -0.5, v154
	v_sub_f16_e64 v158, v141, v147
	v_add_f16_e32 v127, v38, v115
	v_add_f16_e64 v47, v132, v47
	v_add_f16_e64 v114, v156, v44
	v_fma_f16 v38, -0.5, v157, v37
	v_add_f16_e64 v115, v165, v143
	v_fma_f16 v110, -0.5, v166, v106
	v_sub_f16_e64 v159, v143, v145
	v_sub_f16_e64 v168, v44, v104
	v_fmac_f16_e64 v37, -0.5, v162
	v_fmac_f16_e64 v106, -0.5, v171
	v_sub_f16_e64 v142, v126, v50
	v_sub_f16_e64 v133, v135, v133
	;; [unrolled: 1-line block ×3, first 2 shown]
	v_add_f16_e64 v135, v43, v153
	v_add_f16_e32 v46, v46, v49
	v_fmamk_f16 v43, v105, 0x3b9c, v42
	v_fmamk_f16 v44, v116, 0xbb9c, v41
	v_fmac_f16_e32 v41, 0x3b9c, v116
	v_add_f16_e64 v129, v39, v129
	v_fmamk_f16 v117, v119, 0xbb9c, v109
	v_fma_f16 v48, 0x3b9c, v136, v45
	v_add_f16_e64 v137, v112, v137
	v_fma_f16 v112, 0xbb9c, v151, v111
	v_sub_f16_e64 v148, v50, v126
	v_add_f16_e32 v125, v118, v125
	v_fma_f16 v118, 0x3b9c, v130, v107
	v_fmac_f16_e64 v107, 0xbb9c, v130
	v_fma_f16 v39, 0xbb9c, v138, v40
	v_fmac_f16_e64 v40, 0x3b9c, v138
	;; [unrolled: 2-line block ×3, first 2 shown]
	v_sub_f16_e64 v161, v128, v104
	v_sub_f16_e64 v169, v141, v143
	;; [unrolled: 1-line block ×4, first 2 shown]
	v_fmac_f16_e32 v42, 0xbb9c, v105
	v_add_f16_e32 v47, v47, v50
	v_add_f16_e64 v144, v114, v104
	v_fma_f16 v49, 0x3b9c, v158, v38
	v_add_f16_e64 v145, v115, v145
	v_fma_f16 v115, 0xbb9c, v167, v110
	v_sub_f16_e64 v164, v104, v128
	v_sub_f16_e64 v141, v143, v141
	v_fma_f16 v50, 0xbb9c, v159, v37
	v_fma_f16 v114, 0x3b9c, v168, v106
	v_fmac_f16_e32 v109, 0x3b9c, v119
	v_fmac_f16_e64 v37, 0x3b9c, v159
	v_fmac_f16_e64 v106, 0xbb9c, v168
	v_add_f16_e64 v132, v140, v142
	v_fmac_f16_e64 v45, 0xbb9c, v136
	v_fmac_f16_e64 v111, 0x3b9c, v151
	;; [unrolled: 1-line block ×4, first 2 shown]
	v_add_f16_e32 v104, v46, v124
	v_fmac_f16_e32 v43, 0x38b4, v116
	v_fmac_f16_e32 v44, 0x38b4, v105
	;; [unrolled: 1-line block ×3, first 2 shown]
	v_add_f16_e64 v105, v129, v131
	v_fmac_f16_e64 v117, 0xb8b4, v130
	v_fmac_f16_e64 v48, 0x38b4, v138
	;; [unrolled: 1-line block ×3, first 2 shown]
	v_add_f16_e64 v134, v146, v148
	v_add_f16_e64 v133, v133, v155
	v_fmac_f16_e32 v107, 0x38b4, v119
	v_fmac_f16_e64 v40, 0xb8b4, v136
	v_fmac_f16_e64 v108, 0x38b4, v151
	v_add_f16_e64 v140, v160, v161
	v_add_f16_e64 v143, v169, v170
	v_fmac_f16_e32 v42, 0xb8b4, v116
	v_fmac_f16_e32 v118, 0xb8b4, v119
	v_add_f16_e32 v47, v47, v126
	v_add_f16_e64 v116, v137, v139
	v_add_f16_e64 v46, v144, v128
	v_fmac_f16_e64 v49, 0x38b4, v159
	v_add_f16_e64 v119, v145, v147
	v_fmac_f16_e64 v115, 0xb8b4, v168
	v_add_f16_e64 v142, v163, v164
	v_add_f16_e64 v141, v141, v172
	v_fmac_f16_e64 v39, 0x38b4, v136
	v_fmac_f16_e64 v113, 0xb8b4, v151
	;; [unrolled: 1-line block ×12, first 2 shown]
	v_fmac_f16_e32 v117, 0x34f2, v127
	v_fmac_f16_e64 v48, 0x34f2, v132
	v_fmac_f16_e64 v112, 0x34f2, v135
	v_pack_b32_f16 v124, v104, v105
	v_fmac_f16_e64 v41, 0x34f2, v174
	v_fmac_f16_e32 v107, 0x34f2, v125
	v_fmac_f16_e64 v40, 0x34f2, v134
	v_fmac_f16_e64 v108, 0x34f2, v133
	;; [unrolled: 1-line block ×3, first 2 shown]
	v_fmac_f16_e32 v118, 0x34f2, v125
	v_fmac_f16_e64 v49, 0x34f2, v140
	v_fmac_f16_e64 v115, 0x34f2, v143
	v_pack_b32_f16 v125, v47, v116
	v_pack_b32_f16 v126, v46, v119
	v_fmac_f16_e64 v39, 0x34f2, v134
	v_fmac_f16_e64 v113, 0x34f2, v133
	v_fmac_f16_e64 v50, 0x34f2, v142
	v_fmac_f16_e64 v114, 0x34f2, v141
	v_fmac_f16_e64 v42, 0x34f2, v173
	v_fmac_f16_e32 v109, 0x34f2, v127
	v_fmac_f16_e64 v37, 0x34f2, v142
	v_fmac_f16_e64 v106, 0x34f2, v141
	;; [unrolled: 1-line block ×6, first 2 shown]
	ds_store_b32 v67, v124
	v_pack_b32_f16 v124, v43, v117
	v_pack_b32_f16 v130, v48, v112
	;; [unrolled: 1-line block ×5, first 2 shown]
	ds_store_2addr_b32 v53, v125, v126 offset0:85 offset1:170
	v_pack_b32_f16 v125, v49, v115
	v_pack_b32_f16 v131, v39, v113
	;; [unrolled: 1-line block ×7, first 2 shown]
	ds_store_2addr_b32 v102, v124, v130 offset0:127 offset1:212
	ds_store_2addr_b32 v123, v128, v132 offset0:125 offset1:210
	;; [unrolled: 1-line block ×6, first 2 shown]
	global_wb scope:SCOPE_SE
	s_wait_dscnt 0x0
	s_barrier_signal -1
	s_barrier_wait -1
	global_inv scope:SCOPE_SE
	s_and_saveexec_b32 s2, vcc_lo
	s_cbranch_execz .LBB0_9
; %bb.8:
	global_load_b32 v123, v51, s[8:9] offset:5100
	s_add_nc_u64 s[0:1], s[8:9], 0x13ec
	s_clause 0xf
	global_load_b32 v139, v51, s[0:1] offset:300
	global_load_b32 v140, v51, s[0:1] offset:600
	;; [unrolled: 1-line block ×16, first 2 shown]
	ds_load_b32 v124, v67
	v_add_nc_u32_e32 v155, 0xe00, v53
	s_wait_dscnt 0x0
	v_lshrrev_b32_e32 v125, 16, v124
	s_wait_loadcnt 0xf
	v_lshrrev_b32_e32 v156, 16, v139
	s_wait_loadcnt 0xe
	;; [unrolled: 2-line block ×12, first 2 shown]
	v_lshrrev_b32_e32 v167, 16, v150
	v_lshrrev_b32_e32 v126, 16, v123
	s_wait_loadcnt 0x3
	v_lshrrev_b32_e32 v168, 16, v151
	s_wait_loadcnt 0x2
	;; [unrolled: 2-line block ×4, first 2 shown]
	v_lshrrev_b32_e32 v171, 16, v154
	v_mul_f16_e32 v127, v125, v126
	v_mul_f16_e32 v126, v124, v126
	s_delay_alu instid0(VALU_DEP_2) | instskip(NEXT) | instid1(VALU_DEP_2)
	v_fma_f16 v124, v124, v123, -v127
	v_fmac_f16_e32 v126, v125, v123
	s_delay_alu instid0(VALU_DEP_1)
	v_pack_b32_f16 v123, v124, v126
	ds_store_b32 v67, v123
	ds_load_2addr_b32 v[123:124], v53 offset0:75 offset1:150
	ds_load_2addr_b32 v[125:126], v102 offset0:97 offset1:172
	;; [unrolled: 1-line block ×8, first 2 shown]
	s_wait_dscnt 0x7
	v_lshrrev_b32_e32 v172, 16, v123
	v_lshrrev_b32_e32 v174, 16, v124
	s_wait_dscnt 0x6
	v_lshrrev_b32_e32 v176, 16, v125
	v_lshrrev_b32_e32 v178, 16, v126
	;; [unrolled: 3-line block ×5, first 2 shown]
	v_mul_f16_e64 v173, v123, v156
	v_mul_f16_e64 v175, v124, v157
	s_wait_dscnt 0x2
	v_lshrrev_b32_e32 v192, 16, v133
	v_lshrrev_b32_e32 v194, 16, v134
	s_wait_dscnt 0x1
	v_lshrrev_b32_e32 v196, 16, v135
	v_lshrrev_b32_e32 v198, 16, v136
	;; [unrolled: 3-line block ×3, first 2 shown]
	v_mul_f16_e64 v156, v172, v156
	v_mul_f16_e64 v157, v174, v157
	;; [unrolled: 1-line block ×24, first 2 shown]
	v_fmac_f16_e64 v173, v172, v139
	v_fmac_f16_e64 v175, v174, v140
	v_mul_f16_e64 v166, v192, v166
	v_mul_f16_e64 v167, v194, v167
	;; [unrolled: 1-line block ×6, first 2 shown]
	v_fma_f16 v123, v123, v139, -v156
	v_fma_f16 v124, v124, v140, -v157
	v_fmac_f16_e64 v177, v176, v141
	v_fmac_f16_e64 v179, v178, v142
	v_fma_f16 v125, v125, v141, -v158
	v_fma_f16 v126, v126, v142, -v159
	v_fmac_f16_e64 v181, v180, v143
	v_fmac_f16_e64 v183, v182, v144
	;; [unrolled: 4-line block ×5, first 2 shown]
	v_fmac_f16_e64 v197, v196, v151
	v_fmac_f16_e64 v199, v198, v152
	;; [unrolled: 1-line block ×4, first 2 shown]
	v_fma_f16 v133, v133, v149, -v166
	v_fma_f16 v134, v134, v150, -v167
	;; [unrolled: 1-line block ×6, first 2 shown]
	v_pack_b32_f16 v123, v123, v173
	v_pack_b32_f16 v124, v124, v175
	;; [unrolled: 1-line block ×16, first 2 shown]
	ds_store_2addr_b32 v53, v123, v124 offset0:75 offset1:150
	ds_store_2addr_b32 v102, v125, v126 offset0:97 offset1:172
	;; [unrolled: 1-line block ×8, first 2 shown]
.LBB0_9:
	s_wait_alu 0xfffe
	s_or_b32 exec_lo, exec_lo, s2
	global_wb scope:SCOPE_SE
	s_wait_dscnt 0x0
	s_barrier_signal -1
	s_barrier_wait -1
	global_inv scope:SCOPE_SE
	s_and_saveexec_b32 s0, vcc_lo
	s_cbranch_execz .LBB0_11
; %bb.10:
	v_add_nc_u32_e32 v25, 0x200, v67
	v_add_nc_u32_e32 v26, 0x400, v67
	ds_load_b32 v104, v67
	ds_load_2addr_b32 v[43:44], v67 offset0:75 offset1:150
	v_add_nc_u32_e32 v37, 0x800, v67
	ds_load_2addr_b32 v[41:42], v25 offset0:97 offset1:172
	ds_load_2addr_b32 v[47:48], v26 offset0:119 offset1:194
	v_add_nc_u32_e32 v25, 0xc00, v67
	v_add_nc_u32_e32 v26, 0xe00, v67
	;; [unrolled: 1-line block ×3, first 2 shown]
	ds_load_2addr_b32 v[39:40], v37 offset0:13 offset1:88
	ds_load_2addr_b32 v[45:46], v37 offset0:163 offset1:238
	;; [unrolled: 1-line block ×5, first 2 shown]
	s_wait_dscnt 0x8
	v_lshrrev_b32_e32 v105, 16, v104
	s_wait_dscnt 0x7
	v_lshrrev_b32_e32 v117, 16, v43
	v_lshrrev_b32_e32 v118, 16, v44
	s_wait_dscnt 0x6
	v_lshrrev_b32_e32 v107, 16, v41
	;; [unrolled: 3-line block ×8, first 2 shown]
	v_lshrrev_b32_e32 v57, 16, v26
.LBB0_11:
	s_wait_alu 0xfffe
	s_or_b32 exec_lo, exec_lo, s0
	v_add_nc_u32_e32 v103, 0x154, v53
	v_add_nc_u32_e32 v102, 0x2a8, v53
	global_wb scope:SCOPE_SE
	s_barrier_signal -1
	s_barrier_wait -1
	global_inv scope:SCOPE_SE
	s_and_saveexec_b32 s0, vcc_lo
	s_cbranch_execz .LBB0_13
; %bb.12:
	v_add_f16_e32 v120, v43, v104
	v_sub_f16_e32 v122, v39, v46
	v_add_f16_e32 v121, v46, v39
	v_add_f16_e64 v130, v57, v117
	v_add_f16_e64 v132, v58, v118
	v_add_f16_e32 v120, v44, v120
	v_sub_f16_e64 v128, v117, v57
	v_sub_f16_e64 v129, v118, v58
	v_add_f16_e64 v135, v110, v107
	v_add_f16_e64 v136, v106, v109
	v_add_f16_e32 v120, v41, v120
	v_mul_f16_e64 v126, 0xb5c8, v128
	v_mul_f16_e64 v125, 0xb964, v129
	v_add_f16_e64 v137, v114, v116
	v_add_f16_e64 v138, v115, v112
	v_add_f16_e32 v120, v42, v120
	v_add_f16_e64 v134, v119, v113
	v_sub_f16_e64 v139, v107, v110
	v_and_b32_e32 v56, 0xffff, v56
	v_mul_f16_e64 v146, 0x3722, v130
	v_add_f16_e32 v120, v47, v120
	v_mul_f16_e64 v147, 0xb8d2, v132
	v_mul_f16_e64 v148, 0xbbdd, v135
	v_lshl_add_u32 v54, v56, 2, v54
	v_mul_f16_e64 v149, 0xbb29, v128
	v_add_f16_e32 v120, v48, v120
	v_mul_f16_e64 v150, 0xba62, v129
	v_mul_f16_e64 v151, 0x31e1, v139
	;; [unrolled: 1-line block ×4, first 2 shown]
	v_add_f16_e32 v120, v39, v120
	v_add_f16_e32 v39, v45, v40
	v_mul_f16_e64 v157, 0xb8d2, v135
	v_mul_f16_e64 v160, 0xbbdd, v136
	;; [unrolled: 1-line block ×3, first 2 shown]
	v_add_f16_e32 v123, v40, v120
	v_sub_f16_e32 v120, v40, v45
	v_mul_f16_e64 v162, 0xb461, v138
	v_mul_f16_e64 v164, 0xb964, v128
	;; [unrolled: 1-line block ×3, first 2 shown]
	v_add_f16_e32 v40, v45, v123
	v_sub_f16_e32 v123, v47, v50
	v_sub_f16_e32 v45, v48, v49
	v_mul_f16_e64 v168, 0xba62, v139
	v_mul_f16_e64 v178, 0x3836, v129
	v_add_f16_e32 v124, v46, v40
	v_add_f16_e32 v46, v50, v47
	;; [unrolled: 1-line block ×4, first 2 shown]
	v_mul_f16_e64 v185, 0xbbdd, v132
	v_add_f16_e32 v47, v49, v124
	v_sub_f16_e32 v49, v41, v38
	v_add_f16_e32 v41, v37, v42
	v_mul_f16_e64 v124, 0x3b76, v130
	v_mul_f16_e64 v195, 0xb1e1, v129
	v_add_f16_e32 v50, v50, v47
	v_sub_f16_e32 v47, v42, v37
	v_sub_f16_e32 v42, v43, v26
	v_add_f16_e32 v43, v26, v43
	v_mul_f16_e64 v210, 0x3b29, v129
	v_add_f16_e32 v37, v37, v50
	v_mul_f16_e64 v217, 0xb461, v132
	v_fma_f16 v56, 0x3b29, v42, v146
	v_mul_f16_e64 v227, 0x3bb2, v129
	v_mul_f16_e64 v129, 0x35c8, v129
	v_add_f16_e32 v50, v38, v37
	v_sub_f16_e32 v38, v44, v25
	v_add_f16_e32 v37, v25, v44
	v_add_f16_e32 v56, v105, v56
	v_fmac_f16_e64 v146, 0xbb29, v42
	v_add_f16_e32 v25, v25, v50
	v_mul_f16_e64 v50, 0x39e9, v132
	v_fmamk_f16 v44, v37, 0x39e9, v125
	v_fma_f16 v144, 0x3bf7, v38, v155
	v_fma_f16 v179, 0xbacd, v37, v178
	v_add_f16_e64 v140, v26, v25
	v_fmamk_f16 v25, v42, 0x35c8, v124
	v_fmamk_f16 v26, v38, 0x3964, v50
	v_fma_f16 v186, 0x31e1, v38, v185
	v_fma_f16 v196, 0xbbdd, v37, v195
	;; [unrolled: 1-line block ×3, first 2 shown]
	v_add_f16_e32 v25, v105, v25
	v_fma_f16 v218, 0xbbb2, v38, v217
	v_fma_f16 v228, 0xb461, v37, v227
	v_fmac_f16_e32 v124, 0xb5c8, v42
	v_fmac_f16_e64 v217, 0x3bb2, v38
	v_add_f16_e32 v25, v26, v25
	v_add_f16_e32 v26, v117, v105
	v_mul_f16_e64 v117, 0x2de8, v136
	v_fmac_f16_e64 v185, 0xb1e1, v38
	v_fmac_f16_e64 v155, 0xbbf7, v38
	v_fmac_f16_e32 v50, 0xb964, v38
	v_add_f16_e32 v127, v118, v26
	v_fmamk_f16 v26, v43, 0x3b76, v126
	v_mul_f16_e64 v118, 0x3722, v135
	s_delay_alu instid0(VALU_DEP_3) | instskip(NEXT) | instid1(VALU_DEP_3)
	v_add_f16_e32 v127, v107, v127
	v_add_f16_e32 v26, v104, v26
	s_delay_alu instid0(VALU_DEP_2) | instskip(NEXT) | instid1(VALU_DEP_2)
	v_add_f16_e32 v127, v109, v127
	v_add_f16_e64 v141, v44, v26
	v_fmamk_f16 v26, v49, 0x3b29, v118
	v_mul_f16_e64 v44, 0xb461, v137
	v_fmac_f16_e32 v118, 0xbb29, v49
	v_add_f16_e32 v127, v116, v127
	s_delay_alu instid0(VALU_DEP_4) | instskip(SKIP_2) | instid1(VALU_DEP_4)
	v_add_f16_e32 v25, v26, v25
	v_fmamk_f16 v26, v47, 0x3bf7, v117
	v_fmac_f16_e32 v117, 0xbbf7, v47
	v_add_f16_e32 v127, v112, v127
	v_sub_f16_e32 v112, v112, v115
	s_delay_alu instid0(VALU_DEP_4) | instskip(SKIP_1) | instid1(VALU_DEP_4)
	v_add_f16_e32 v25, v26, v25
	v_fmamk_f16 v26, v123, 0x3bb2, v44
	v_add_f16_e32 v127, v113, v127
	v_sub_f16_e32 v113, v113, v119
	v_mul_f16_e64 v156, 0xb5c8, v112
	v_fmac_f16_e32 v44, 0xbbb2, v123
	v_add_f16_e32 v25, v26, v25
	v_mul_f16_e64 v26, 0xb8d2, v138
	v_add_f16_e32 v127, v108, v127
	v_mul_f16_e64 v159, 0xbbf7, v113
	s_delay_alu instid0(VALU_DEP_3) | instskip(SKIP_1) | instid1(VALU_DEP_2)
	v_fma_f16 v131, 0x3a62, v45, v26
	v_fmac_f16_e32 v26, 0xba62, v45
	v_add_f16_e64 v131, v131, v25
	v_mul_f16_e64 v25, 0xbacd, v134
	s_delay_alu instid0(VALU_DEP_1) | instskip(SKIP_1) | instid1(VALU_DEP_2)
	v_fma_f16 v133, 0x3836, v122, v25
	v_fmac_f16_e32 v25, 0xb836, v122
	v_add_f16_e64 v142, v133, v131
	v_add_f16_e64 v133, v111, v108
	v_sub_f16_e64 v131, v108, v111
	v_add_f16_e32 v108, v111, v127
	v_mul_f16_e64 v127, 0xbb29, v139
	s_delay_alu instid0(VALU_DEP_2) | instskip(SKIP_1) | instid1(VALU_DEP_3)
	v_add_f16_e32 v108, v119, v108
	v_sub_f16_e32 v119, v109, v106
	v_fmamk_f16 v107, v48, 0x3722, v127
	s_delay_alu instid0(VALU_DEP_3) | instskip(NEXT) | instid1(VALU_DEP_3)
	v_add_f16_e32 v108, v115, v108
	v_mul_f16_e32 v111, 0xbbf7, v119
	s_delay_alu instid0(VALU_DEP_3)
	v_add_f16_e64 v107, v107, v141
	v_sub_f16_e32 v115, v116, v114
	v_mul_f16_e64 v152, 0x3bb2, v119
	v_add_f16_e32 v114, v114, v108
	v_fmamk_f16 v109, v41, 0x2de8, v111
	v_mul_f16_e32 v108, 0xba62, v112
	v_mul_f16_e64 v153, 0x3964, v115
	s_delay_alu instid0(VALU_DEP_4) | instskip(NEXT) | instid1(VALU_DEP_4)
	v_add_f16_e32 v106, v106, v114
	v_add_f16_e32 v107, v109, v107
	v_mul_f16_e32 v109, 0xbbb2, v115
	s_delay_alu instid0(VALU_DEP_3) | instskip(SKIP_1) | instid1(VALU_DEP_3)
	v_add_f16_e32 v110, v110, v106
	v_mul_f16_e64 v106, 0xbbdd, v133
	v_fmamk_f16 v116, v46, 0xb461, v109
	s_delay_alu instid0(VALU_DEP_3) | instskip(SKIP_1) | instid1(VALU_DEP_3)
	v_add_f16_e32 v110, v58, v110
	v_mul_f16_e64 v58, 0xb1e1, v131
	v_add_f16_e32 v107, v116, v107
	v_fmamk_f16 v116, v40, 0xb8d2, v108
	s_delay_alu instid0(VALU_DEP_4) | instskip(SKIP_2) | instid1(VALU_DEP_4)
	v_add_f16_e32 v57, v57, v110
	v_fma_f16 v110, 0x3a62, v38, v147
	v_fma_f16 v141, 0xbbdd, v39, v58
	v_add_f16_e32 v116, v116, v107
	v_mul_f16_e32 v107, 0xb836, v113
	v_pack_b32_f16 v57, v140, v57
	v_add_f16_e32 v56, v110, v56
	v_fma_f16 v110, 0xb1e1, v49, v148
	v_fmac_f16_e64 v147, 0xba62, v38
	v_fmamk_f16 v114, v121, 0xbacd, v107
	v_fmac_f16_e64 v148, 0x31e1, v49
	s_delay_alu instid0(VALU_DEP_4) | instskip(NEXT) | instid1(VALU_DEP_3)
	v_add_f16_e32 v56, v110, v56
	v_add_f16_e32 v114, v114, v116
	v_fmamk_f16 v116, v120, 0x31e1, v106
	v_fmac_f16_e32 v106, 0xb1e1, v120
	s_delay_alu instid0(VALU_DEP_3) | instskip(NEXT) | instid1(VALU_DEP_3)
	v_add_f16_e64 v114, v141, v114
	v_add_f16_e64 v116, v116, v142
	v_mul_f16_e64 v142, 0xb461, v136
	v_mul_f16_e64 v141, 0x39e9, v137
	s_delay_alu instid0(VALU_DEP_3) | instskip(NEXT) | instid1(VALU_DEP_3)
	v_pack_b32_f16 v145, v114, v116
	v_fma_f16 v110, 0xbbb2, v47, v142
	v_mul_f16_e64 v116, 0x3b76, v138
	v_fma_f16 v114, 0xb8d2, v37, v150
	v_fmac_f16_e64 v142, 0x3bb2, v47
	s_delay_alu instid0(VALU_DEP_4) | instskip(SKIP_2) | instid1(VALU_DEP_2)
	v_add_f16_e32 v56, v110, v56
	v_fma_f16 v110, 0xb964, v123, v141
	v_fmac_f16_e64 v141, 0x3964, v123
	v_add_f16_e32 v56, v110, v56
	v_fmamk_f16 v110, v45, 0x35c8, v116
	v_fmac_f16_e32 v116, 0xb5c8, v45
	s_delay_alu instid0(VALU_DEP_2) | instskip(SKIP_1) | instid1(VALU_DEP_1)
	v_add_f16_e32 v110, v110, v56
	v_fma_f16 v56, 0x3722, v43, v149
	v_add_f16_e32 v56, v104, v56
	s_delay_alu instid0(VALU_DEP_1) | instskip(SKIP_1) | instid1(VALU_DEP_1)
	v_add_f16_e32 v114, v114, v56
	v_mul_f16_e64 v56, 0x2de8, v134
	v_fma_f16 v143, 0x3bf7, v122, v56
	v_fmac_f16_e32 v56, 0xbbf7, v122
	s_delay_alu instid0(VALU_DEP_2) | instskip(SKIP_1) | instid1(VALU_DEP_1)
	v_add_f16_e64 v143, v143, v110
	v_fma_f16 v110, 0xbbdd, v48, v151
	v_add_f16_e32 v110, v110, v114
	v_fma_f16 v114, 0xb461, v41, v152
	s_delay_alu instid0(VALU_DEP_1) | instskip(SKIP_1) | instid1(VALU_DEP_1)
	v_add_f16_e32 v110, v114, v110
	v_fma_f16 v114, 0x39e9, v46, v153
	v_add_f16_e32 v110, v114, v110
	v_fma_f16 v114, 0x3964, v42, v154
	v_fmac_f16_e64 v154, 0xb964, v42
	s_delay_alu instid0(VALU_DEP_2) | instskip(NEXT) | instid1(VALU_DEP_1)
	v_add_f16_e32 v114, v105, v114
	v_add_f16_e64 v114, v144, v114
	v_fma_f16 v144, 0x3b76, v40, v156
	s_delay_alu instid0(VALU_DEP_1) | instskip(SKIP_2) | instid1(VALU_DEP_2)
	v_add_f16_e64 v144, v144, v110
	v_fma_f16 v110, 0x3a62, v49, v157
	v_fmac_f16_e64 v157, 0xba62, v49
	v_add_f16_e32 v114, v110, v114
	v_mul_f16_e64 v110, 0xbacd, v133
	s_delay_alu instid0(VALU_DEP_1) | instskip(SKIP_1) | instid1(VALU_DEP_2)
	v_fma_f16 v158, 0x3836, v120, v110
	v_fmac_f16_e32 v110, 0xb836, v120
	v_add_f16_e64 v158, v158, v143
	v_fma_f16 v143, 0x2de8, v121, v159
	s_delay_alu instid0(VALU_DEP_1) | instskip(SKIP_2) | instid1(VALU_DEP_2)
	v_add_f16_e64 v143, v143, v144
	v_fma_f16 v144, 0x31e1, v47, v160
	v_fmac_f16_e64 v160, 0xb1e1, v47
	v_add_f16_e64 v114, v144, v114
	v_fma_f16 v144, 0xb836, v123, v161
	v_fmac_f16_e64 v161, 0x3836, v123
	s_delay_alu instid0(VALU_DEP_2) | instskip(SKIP_2) | instid1(VALU_DEP_2)
	v_add_f16_e64 v114, v144, v114
	v_fma_f16 v144, 0xbbb2, v45, v162
	v_fmac_f16_e64 v162, 0x3bb2, v45
	v_add_f16_e64 v163, v144, v114
	v_fma_f16 v114, 0x39e9, v43, v164
	v_fma_f16 v144, 0x2de8, v37, v165
	s_delay_alu instid0(VALU_DEP_2) | instskip(NEXT) | instid1(VALU_DEP_1)
	v_add_f16_e32 v114, v104, v114
	v_add_f16_e64 v166, v144, v114
	v_mul_f16_e64 v114, 0xb836, v131
	s_delay_alu instid0(VALU_DEP_1) | instskip(NEXT) | instid1(VALU_DEP_1)
	v_fma_f16 v144, 0xbacd, v39, v114
	v_add_f16_e64 v167, v144, v143
	v_mul_f16_e64 v144, 0x3722, v134
	s_delay_alu instid0(VALU_DEP_2) | instskip(NEXT) | instid1(VALU_DEP_2)
	v_pack_b32_f16 v140, v167, v158
	v_fma_f16 v143, 0xbb29, v122, v144
	v_fmac_f16_e64 v144, 0x3b29, v122
	s_delay_alu instid0(VALU_DEP_2) | instskip(SKIP_1) | instid1(VALU_DEP_1)
	v_add_f16_e64 v163, v143, v163
	v_fma_f16 v143, 0xb8d2, v48, v168
	v_add_f16_e64 v143, v143, v166
	v_mul_f16_e64 v166, 0xb1e1, v119
	s_delay_alu instid0(VALU_DEP_1) | instskip(NEXT) | instid1(VALU_DEP_1)
	v_fma_f16 v169, 0xbbdd, v41, v166
	v_add_f16_e64 v143, v169, v143
	v_mul_f16_e64 v169, 0x3836, v115
	s_delay_alu instid0(VALU_DEP_1) | instskip(NEXT) | instid1(VALU_DEP_1)
	;; [unrolled: 4-line block ×3, first 2 shown]
	v_fma_f16 v171, 0xb461, v40, v170
	v_add_f16_e64 v171, v171, v143
	v_mul_f16_e64 v143, 0x3b76, v133
	s_delay_alu instid0(VALU_DEP_1) | instskip(SKIP_1) | instid1(VALU_DEP_2)
	v_fma_f16 v172, 0xb5c8, v120, v143
	v_fmac_f16_e64 v143, 0x35c8, v120
	v_add_f16_e64 v163, v172, v163
	v_mul_f16_e64 v172, 0x3b29, v113
	s_delay_alu instid0(VALU_DEP_1) | instskip(NEXT) | instid1(VALU_DEP_1)
	v_fma_f16 v173, 0x3722, v121, v172
	v_add_f16_e64 v171, v173, v171
	v_mul_f16_e64 v173, 0x35c8, v131
	s_delay_alu instid0(VALU_DEP_1) | instskip(NEXT) | instid1(VALU_DEP_1)
	v_fma_f16 v174, 0x3b76, v39, v173
	v_add_f16_e64 v171, v174, v171
	s_delay_alu instid0(VALU_DEP_1)
	v_pack_b32_f16 v158, v171, v163
	ds_store_2addr_b32 v54, v57, v145 offset1:1
	v_mul_f16_e64 v57, 0xb461, v130
	v_mul_f16_e64 v163, 0xbacd, v132
	ds_store_2addr_b32 v54, v158, v140 offset0:2 offset1:3
	v_mul_f16_e64 v140, 0xbacd, v130
	v_fma_f16 v145, 0x3bb2, v42, v57
	v_fma_f16 v167, 0xb836, v38, v163
	v_fmac_f16_e32 v57, 0xbbb2, v42
	v_fmac_f16_e64 v163, 0x3836, v38
	v_fma_f16 v158, 0x3836, v42, v140
	v_add_f16_e64 v145, v105, v145
	v_fmac_f16_e64 v140, 0xb836, v42
	v_add_f16_e32 v57, v105, v57
	s_delay_alu instid0(VALU_DEP_4) | instskip(NEXT) | instid1(VALU_DEP_4)
	v_add_f16_e64 v158, v105, v158
	v_add_f16_e64 v145, v167, v145
	v_mul_f16_e64 v167, 0x39e9, v135
	s_delay_alu instid0(VALU_DEP_4) | instskip(NEXT) | instid1(VALU_DEP_2)
	v_add_f16_e64 v57, v163, v57
	v_fma_f16 v171, 0xb964, v49, v167
	v_fmac_f16_e64 v167, 0x3964, v49
	s_delay_alu instid0(VALU_DEP_2) | instskip(SKIP_1) | instid1(VALU_DEP_3)
	v_add_f16_e64 v145, v171, v145
	v_mul_f16_e64 v171, 0x3722, v136
	v_add_f16_e64 v57, v167, v57
	s_delay_alu instid0(VALU_DEP_2) | instskip(SKIP_1) | instid1(VALU_DEP_2)
	v_fma_f16 v174, 0x3b29, v47, v171
	v_fmac_f16_e64 v171, 0xbb29, v47
	v_add_f16_e64 v145, v174, v145
	v_mul_f16_e64 v174, 0xbbdd, v137
	s_delay_alu instid0(VALU_DEP_3) | instskip(NEXT) | instid1(VALU_DEP_2)
	v_add_f16_e64 v57, v171, v57
	v_fma_f16 v175, 0x31e1, v123, v174
	v_fmac_f16_e64 v174, 0xb1e1, v123
	s_delay_alu instid0(VALU_DEP_2) | instskip(SKIP_1) | instid1(VALU_DEP_3)
	v_add_f16_e64 v145, v175, v145
	v_mul_f16_e64 v175, 0x2de8, v138
	v_add_f16_e64 v57, v174, v57
	s_delay_alu instid0(VALU_DEP_2) | instskip(SKIP_1) | instid1(VALU_DEP_2)
	v_fma_f16 v176, 0xbbf7, v45, v175
	v_fmac_f16_e64 v175, 0x3bf7, v45
	v_add_f16_e64 v145, v176, v145
	v_mul_f16_e64 v176, 0xbbb2, v128
	s_delay_alu instid0(VALU_DEP_3) | instskip(NEXT) | instid1(VALU_DEP_2)
	v_add_f16_e64 v57, v175, v57
	v_fma_f16 v177, 0xb461, v43, v176
	s_delay_alu instid0(VALU_DEP_1) | instskip(NEXT) | instid1(VALU_DEP_1)
	v_add_f16_e64 v177, v104, v177
	v_add_f16_e64 v177, v179, v177
	v_mul_f16_e64 v179, 0x3b76, v134
	s_delay_alu instid0(VALU_DEP_1) | instskip(SKIP_1) | instid1(VALU_DEP_2)
	v_fma_f16 v180, 0x35c8, v122, v179
	v_fmac_f16_e64 v179, 0xb5c8, v122
	v_add_f16_e64 v145, v180, v145
	v_mul_f16_e64 v180, 0x3964, v139
	s_delay_alu instid0(VALU_DEP_3) | instskip(NEXT) | instid1(VALU_DEP_2)
	v_add_f16_e64 v57, v179, v57
	v_fma_f16 v181, 0x39e9, v48, v180
	s_delay_alu instid0(VALU_DEP_1) | instskip(SKIP_1) | instid1(VALU_DEP_1)
	v_add_f16_e64 v177, v181, v177
	v_mul_f16_e64 v181, 0xbb29, v119
	v_fma_f16 v182, 0x3722, v41, v181
	s_delay_alu instid0(VALU_DEP_1) | instskip(SKIP_1) | instid1(VALU_DEP_1)
	v_add_f16_e64 v177, v182, v177
	v_mul_f16_e64 v182, 0xb1e1, v115
	;; [unrolled: 4-line block ×3, first 2 shown]
	v_fma_f16 v184, 0x3bf7, v42, v183
	v_fmac_f16_e64 v183, 0xbbf7, v42
	s_delay_alu instid0(VALU_DEP_2) | instskip(NEXT) | instid1(VALU_DEP_1)
	v_add_f16_e64 v184, v105, v184
	v_add_f16_e64 v184, v186, v184
	v_mul_f16_e64 v186, 0x3bf7, v112
	s_delay_alu instid0(VALU_DEP_1) | instskip(NEXT) | instid1(VALU_DEP_1)
	v_fma_f16 v187, 0x2de8, v40, v186
	v_add_f16_e64 v177, v187, v177
	v_mul_f16_e64 v187, 0xb461, v135
	s_delay_alu instid0(VALU_DEP_1) | instskip(SKIP_1) | instid1(VALU_DEP_2)
	v_fma_f16 v188, 0xbbb2, v49, v187
	v_fmac_f16_e64 v187, 0x3bb2, v49
	v_add_f16_e64 v184, v188, v184
	v_mul_f16_e64 v188, 0xb8d2, v133
	s_delay_alu instid0(VALU_DEP_1) | instskip(SKIP_1) | instid1(VALU_DEP_2)
	v_fma_f16 v189, 0x3a62, v120, v188
	v_fmac_f16_e64 v188, 0xba62, v120
	v_add_f16_e64 v145, v189, v145
	v_mul_f16_e64 v189, 0xb5c8, v113
	s_delay_alu instid0(VALU_DEP_3) | instskip(NEXT) | instid1(VALU_DEP_2)
	v_add_f16_e64 v57, v188, v57
	v_fma_f16 v190, 0x3b76, v121, v189
	s_delay_alu instid0(VALU_DEP_1) | instskip(SKIP_1) | instid1(VALU_DEP_1)
	v_add_f16_e64 v177, v190, v177
	v_mul_f16_e64 v190, 0x3b76, v136
	v_fma_f16 v191, 0xb5c8, v47, v190
	v_fmac_f16_e64 v190, 0x35c8, v47
	s_delay_alu instid0(VALU_DEP_2) | instskip(SKIP_1) | instid1(VALU_DEP_1)
	v_add_f16_e64 v184, v191, v184
	v_mul_f16_e64 v191, 0x3722, v137
	v_fma_f16 v192, 0x3b29, v123, v191
	v_fmac_f16_e64 v191, 0xbb29, v123
	s_delay_alu instid0(VALU_DEP_2) | instskip(SKIP_1) | instid1(VALU_DEP_1)
	;; [unrolled: 5-line block ×3, first 2 shown]
	v_add_f16_e64 v184, v193, v184
	v_mul_f16_e64 v193, 0xbbf7, v128
	v_fma_f16 v194, 0x2de8, v43, v193
	s_delay_alu instid0(VALU_DEP_1) | instskip(NEXT) | instid1(VALU_DEP_1)
	v_add_f16_e64 v194, v104, v194
	v_add_f16_e64 v194, v196, v194
	v_mul_f16_e64 v196, 0xba62, v131
	s_delay_alu instid0(VALU_DEP_1) | instskip(NEXT) | instid1(VALU_DEP_1)
	v_fma_f16 v197, 0xb8d2, v39, v196
	v_add_f16_e64 v177, v197, v177
	v_mul_f16_e64 v197, 0xb8d2, v134
	s_delay_alu instid0(VALU_DEP_2) | instskip(NEXT) | instid1(VALU_DEP_2)
	v_pack_b32_f16 v145, v177, v145
	v_fma_f16 v198, 0xba62, v122, v197
	v_fmac_f16_e64 v197, 0x3a62, v122
	s_delay_alu instid0(VALU_DEP_2) | instskip(SKIP_1) | instid1(VALU_DEP_1)
	v_add_f16_e64 v184, v198, v184
	v_mul_f16_e64 v198, 0x3bb2, v139
	v_fma_f16 v199, 0xb461, v48, v198
	s_delay_alu instid0(VALU_DEP_1) | instskip(SKIP_1) | instid1(VALU_DEP_1)
	v_add_f16_e64 v194, v199, v194
	v_mul_f16_e64 v199, 0x35c8, v119
	v_fma_f16 v200, 0x3b76, v41, v199
	s_delay_alu instid0(VALU_DEP_1) | instskip(SKIP_1) | instid1(VALU_DEP_1)
	;; [unrolled: 4-line block ×4, first 2 shown]
	v_add_f16_e64 v194, v202, v194
	v_mul_f16_e64 v202, 0x39e9, v133
	v_fma_f16 v203, 0xb964, v120, v202
	v_fmac_f16_e64 v202, 0x3964, v120
	s_delay_alu instid0(VALU_DEP_2) | instskip(SKIP_1) | instid1(VALU_DEP_1)
	v_add_f16_e64 v184, v203, v184
	v_mul_f16_e64 v203, 0x3a62, v113
	v_fma_f16 v204, 0xb8d2, v121, v203
	s_delay_alu instid0(VALU_DEP_1) | instskip(SKIP_1) | instid1(VALU_DEP_1)
	v_add_f16_e64 v194, v204, v194
	v_mul_f16_e64 v204, 0x3964, v131
	v_fma_f16 v205, 0x39e9, v39, v204
	s_delay_alu instid0(VALU_DEP_1) | instskip(NEXT) | instid1(VALU_DEP_1)
	v_add_f16_e64 v194, v205, v194
	v_pack_b32_f16 v177, v194, v184
	v_mul_f16_e64 v184, 0x3722, v132
	v_mul_f16_e64 v132, 0x3b76, v132
	s_delay_alu instid0(VALU_DEP_2) | instskip(SKIP_1) | instid1(VALU_DEP_2)
	v_fma_f16 v194, 0xbb29, v38, v184
	v_fmac_f16_e64 v184, 0x3b29, v38
	v_add_f16_e64 v158, v194, v158
	v_mul_f16_e64 v194, 0x2de8, v135
	s_delay_alu instid0(VALU_DEP_1) | instskip(SKIP_1) | instid1(VALU_DEP_2)
	v_fma_f16 v205, 0x3bf7, v49, v194
	v_fmac_f16_e64 v194, 0xbbf7, v49
	v_add_f16_e64 v158, v205, v158
	v_mul_f16_e64 v205, 0xb8d2, v136
	s_delay_alu instid0(VALU_DEP_1) | instskip(SKIP_1) | instid1(VALU_DEP_2)
	v_fma_f16 v206, 0xba62, v47, v205
	v_fmac_f16_e64 v205, 0x3a62, v47
	v_add_f16_e64 v158, v206, v158
	v_mul_f16_e64 v206, 0x3b76, v137
	s_delay_alu instid0(VALU_DEP_1) | instskip(SKIP_1) | instid1(VALU_DEP_2)
	v_fma_f16 v207, 0x35c8, v123, v206
	v_fmac_f16_e64 v206, 0xb5c8, v123
	v_add_f16_e64 v158, v207, v158
	v_mul_f16_e64 v207, 0xbbdd, v138
	s_delay_alu instid0(VALU_DEP_1) | instskip(SKIP_1) | instid1(VALU_DEP_2)
	v_fma_f16 v208, 0x31e1, v45, v207
	v_fmac_f16_e64 v207, 0xb1e1, v45
	v_add_f16_e64 v158, v208, v158
	v_mul_f16_e64 v208, 0xb836, v128
	s_delay_alu instid0(VALU_DEP_1) | instskip(NEXT) | instid1(VALU_DEP_1)
	v_fma_f16 v209, 0xbacd, v43, v208
	v_add_f16_e64 v209, v104, v209
	s_delay_alu instid0(VALU_DEP_1) | instskip(SKIP_1) | instid1(VALU_DEP_1)
	v_add_f16_e64 v209, v211, v209
	v_mul_f16_e64 v211, 0x39e9, v134
	v_fma_f16 v212, 0xb964, v122, v211
	v_fmac_f16_e64 v211, 0x3964, v122
	s_delay_alu instid0(VALU_DEP_2) | instskip(SKIP_1) | instid1(VALU_DEP_1)
	v_add_f16_e64 v158, v212, v158
	v_mul_f16_e64 v212, 0xbbf7, v139
	v_fma_f16 v213, 0x2de8, v48, v212
	s_delay_alu instid0(VALU_DEP_1) | instskip(SKIP_1) | instid1(VALU_DEP_1)
	v_add_f16_e64 v209, v213, v209
	v_mul_f16_e64 v213, 0x3a62, v119
	v_fma_f16 v214, 0xb8d2, v41, v213
	s_delay_alu instid0(VALU_DEP_1) | instskip(SKIP_1) | instid1(VALU_DEP_1)
	v_add_f16_e64 v209, v214, v209
	v_mul_f16_e64 v214, 0xb5c8, v115
	v_fma_f16 v215, 0x3b76, v46, v214
	s_delay_alu instid0(VALU_DEP_1) | instskip(SKIP_2) | instid1(VALU_DEP_2)
	v_add_f16_e64 v209, v215, v209
	v_mul_f16_e64 v215, 0xb8d2, v130
	v_mul_f16_e64 v130, 0xbbdd, v130
	v_fma_f16 v216, 0x3a62, v42, v215
	v_fmac_f16_e64 v215, 0xba62, v42
	s_delay_alu instid0(VALU_DEP_2) | instskip(NEXT) | instid1(VALU_DEP_1)
	v_add_f16_e64 v216, v105, v216
	v_add_f16_e64 v216, v218, v216
	v_mul_f16_e64 v218, 0xb1e1, v112
	s_delay_alu instid0(VALU_DEP_1) | instskip(NEXT) | instid1(VALU_DEP_1)
	v_fma_f16 v219, 0xbbdd, v40, v218
	v_add_f16_e64 v209, v219, v209
	v_mul_f16_e64 v219, 0x3b76, v135
	v_mul_f16_e64 v135, 0xbacd, v135
	s_delay_alu instid0(VALU_DEP_2) | instskip(SKIP_1) | instid1(VALU_DEP_2)
	v_fma_f16 v220, 0x35c8, v49, v219
	v_fmac_f16_e64 v219, 0xb5c8, v49
	v_add_f16_e64 v216, v220, v216
	v_mul_f16_e64 v220, 0xb461, v133
	s_delay_alu instid0(VALU_DEP_1) | instskip(SKIP_1) | instid1(VALU_DEP_2)
	v_fma_f16 v221, 0x3bb2, v120, v220
	v_fmac_f16_e64 v220, 0xbbb2, v120
	v_add_f16_e64 v158, v221, v158
	v_mul_f16_e64 v221, 0x3964, v113
	s_delay_alu instid0(VALU_DEP_1) | instskip(NEXT) | instid1(VALU_DEP_1)
	v_fma_f16 v222, 0x39e9, v121, v221
	v_add_f16_e64 v209, v222, v209
	v_mul_f16_e64 v222, 0xbacd, v136
	v_mul_f16_e64 v136, 0x39e9, v136
	s_delay_alu instid0(VALU_DEP_2) | instskip(SKIP_1) | instid1(VALU_DEP_2)
	v_fma_f16 v223, 0x3836, v47, v222
	v_fmac_f16_e64 v222, 0xb836, v47
	v_add_f16_e64 v216, v223, v216
	v_mul_f16_e64 v223, 0x2de8, v137
	v_mul_f16_e64 v137, 0xb8d2, v137
	s_delay_alu instid0(VALU_DEP_2) | instskip(SKIP_1) | instid1(VALU_DEP_2)
	v_fma_f16 v224, 0xbbf7, v123, v223
	v_fmac_f16_e64 v223, 0x3bf7, v123
	;; [unrolled: 6-line block ×3, first 2 shown]
	v_add_f16_e64 v216, v225, v216
	v_mul_f16_e64 v225, 0xba62, v128
	v_mul_f16_e64 v128, 0xb1e1, v128
	s_delay_alu instid0(VALU_DEP_2) | instskip(NEXT) | instid1(VALU_DEP_1)
	v_fma_f16 v226, 0xb8d2, v43, v225
	v_add_f16_e64 v226, v104, v226
	s_delay_alu instid0(VALU_DEP_1) | instskip(SKIP_1) | instid1(VALU_DEP_1)
	v_add_f16_e64 v226, v228, v226
	v_mul_f16_e64 v228, 0xbbb2, v131
	v_fma_f16 v229, 0xb461, v39, v228
	s_delay_alu instid0(VALU_DEP_1) | instskip(SKIP_2) | instid1(VALU_DEP_3)
	v_add_f16_e64 v209, v229, v209
	v_mul_f16_e64 v229, 0xbbdd, v134
	v_mul_f16_e64 v134, 0xb461, v134
	v_pack_b32_f16 v158, v209, v158
	s_delay_alu instid0(VALU_DEP_3) | instskip(SKIP_1) | instid1(VALU_DEP_2)
	v_fma_f16 v230, 0x31e1, v122, v229
	v_fmac_f16_e64 v229, 0xb1e1, v122
	v_add_f16_e64 v216, v230, v216
	v_mul_f16_e64 v230, 0xb5c8, v139
	v_mul_f16_e64 v139, 0xb836, v139
	s_delay_alu instid0(VALU_DEP_2) | instskip(NEXT) | instid1(VALU_DEP_1)
	v_fma_f16 v231, 0x3b76, v48, v230
	v_add_f16_e64 v226, v231, v226
	v_mul_f16_e64 v231, 0xb836, v119
	v_mul_f16_e32 v119, 0x3964, v119
	s_delay_alu instid0(VALU_DEP_2) | instskip(NEXT) | instid1(VALU_DEP_1)
	v_fma_f16 v232, 0xbacd, v41, v231
	v_add_f16_e64 v226, v232, v226
	v_mul_f16_e64 v232, 0x3bf7, v115
	v_mul_f16_e32 v115, 0xba62, v115
	;; [unrolled: 5-line block ×3, first 2 shown]
	s_delay_alu instid0(VALU_DEP_2) | instskip(NEXT) | instid1(VALU_DEP_1)
	v_fma_f16 v234, 0x39e9, v40, v233
	v_add_f16_e64 v226, v234, v226
	v_mul_f16_e64 v234, 0x3722, v133
	v_mul_f16_e64 v133, 0x2de8, v133
	s_delay_alu instid0(VALU_DEP_2) | instskip(SKIP_1) | instid1(VALU_DEP_2)
	v_fma_f16 v235, 0xbb29, v120, v234
	v_fmac_f16_e64 v234, 0x3b29, v120
	v_add_f16_e64 v216, v235, v216
	v_mul_f16_e64 v235, 0xb1e1, v113
	v_mul_f16_e32 v113, 0xbbb2, v113
	s_delay_alu instid0(VALU_DEP_2) | instskip(NEXT) | instid1(VALU_DEP_1)
	v_fma_f16 v236, 0xbbdd, v121, v235
	v_add_f16_e64 v226, v236, v226
	v_mul_f16_e64 v236, 0x3b29, v131
	v_mul_f16_e64 v131, 0x3bf7, v131
	s_delay_alu instid0(VALU_DEP_2) | instskip(NEXT) | instid1(VALU_DEP_1)
	v_fma_f16 v237, 0x3722, v39, v236
	v_add_f16_e64 v226, v237, v226
	s_delay_alu instid0(VALU_DEP_1)
	v_pack_b32_f16 v209, v226, v216
	ds_store_2addr_b32 v54, v177, v145 offset0:4 offset1:5
	ds_store_2addr_b32 v54, v209, v158 offset0:6 offset1:7
	v_fma_f16 v145, 0x31e1, v42, v130
	v_fma_f16 v158, 0xb5c8, v38, v132
	v_fmac_f16_e64 v130, 0xb1e1, v42
	v_fma_f16 v177, 0x3b76, v37, v129
	v_fmac_f16_e64 v132, 0x35c8, v38
	v_add_f16_e64 v145, v105, v145
	v_fma_f16 v129, v37, 0x3b76, -v129
	v_add_f16_e64 v130, v105, v130
	v_fma_f16 v42, v43, 0x39e9, -v164
	s_delay_alu instid0(VALU_DEP_4) | instskip(SKIP_1) | instid1(VALU_DEP_4)
	v_add_f16_e64 v145, v158, v145
	v_fma_f16 v158, 0x3836, v49, v135
	v_add_f16_e64 v130, v132, v130
	v_fmac_f16_e64 v135, 0xb836, v49
	v_fma_f16 v132, v48, 0xbacd, -v139
	v_add_f16_e32 v38, v104, v42
	v_add_f16_e64 v145, v158, v145
	v_fma_f16 v158, 0xb964, v47, v136
	v_add_f16_e64 v130, v135, v130
	v_fmac_f16_e64 v136, 0x3964, v47
	v_fma_f16 v135, v37, 0xb8d2, -v150
	v_fma_f16 v49, v121, 0x2de8, -v159
	v_add_f16_e64 v145, v158, v145
	v_fma_f16 v158, 0x3a62, v123, v137
	v_add_f16_e64 v130, v136, v130
	v_fmac_f16_e64 v137, 0xba62, v123
	v_fma_f16 v136, v41, 0xb461, -v152
	s_delay_alu instid0(VALU_DEP_4) | instskip(SKIP_1) | instid1(VALU_DEP_4)
	v_add_f16_e64 v145, v158, v145
	v_fma_f16 v158, 0xbb29, v45, v138
	v_add_f16_e64 v130, v137, v130
	v_fmac_f16_e64 v138, 0x3b29, v45
	s_delay_alu instid0(VALU_DEP_3) | instskip(SKIP_2) | instid1(VALU_DEP_4)
	v_add_f16_e64 v145, v158, v145
	v_fma_f16 v158, 0xbbdd, v43, v128
	v_fma_f16 v128, v43, 0xbbdd, -v128
	v_add_f16_e64 v130, v138, v130
	s_delay_alu instid0(VALU_DEP_3) | instskip(NEXT) | instid1(VALU_DEP_3)
	v_add_f16_e64 v158, v104, v158
	v_add_f16_e64 v128, v104, v128
	s_delay_alu instid0(VALU_DEP_2) | instskip(SKIP_1) | instid1(VALU_DEP_3)
	v_add_f16_e64 v158, v177, v158
	v_fma_f16 v177, 0xbacd, v48, v139
	v_add_f16_e64 v128, v129, v128
	v_add_f16_e64 v129, v105, v140
	s_delay_alu instid0(VALU_DEP_3) | instskip(SKIP_2) | instid1(VALU_DEP_4)
	v_add_f16_e64 v158, v177, v158
	v_fma_f16 v177, 0x3bb2, v122, v134
	v_fmac_f16_e64 v134, 0xbbb2, v122
	v_add_f16_e64 v129, v184, v129
	v_add_f16_e64 v128, v132, v128
	v_fma_f16 v132, v43, 0xbacd, -v208
	v_add_f16_e64 v145, v177, v145
	v_fma_f16 v177, 0x39e9, v41, v119
	v_add_f16_e64 v130, v134, v130
	v_add_f16_e64 v129, v194, v129
	;; [unrolled: 1-line block ×3, first 2 shown]
	v_fma_f16 v119, v41, 0x39e9, -v119
	v_add_f16_e64 v158, v177, v158
	v_fma_f16 v177, 0xb8d2, v46, v115
	v_fma_f16 v115, v46, 0xb8d2, -v115
	v_fma_f16 v134, v43, 0x3722, -v149
	v_add_f16_e64 v119, v119, v128
	v_add_f16_e64 v128, v205, v129
	;; [unrolled: 1-line block ×3, first 2 shown]
	v_fma_f16 v177, 0x3722, v40, v112
	v_fma_f16 v129, v48, 0x2de8, -v212
	v_add_f16_e32 v115, v115, v119
	v_add_f16_e64 v119, v206, v128
	v_fma_f16 v128, v41, 0xb8d2, -v213
	v_add_f16_e64 v158, v177, v158
	v_fma_f16 v177, 0xbbf7, v120, v133
	v_fmac_f16_e64 v133, 0x3bf7, v120
	v_fma_f16 v112, v40, 0x3722, -v112
	v_add_f16_e64 v134, v104, v134
	s_delay_alu instid0(VALU_DEP_4) | instskip(NEXT) | instid1(VALU_DEP_4)
	v_add_f16_e64 v145, v177, v145
	v_add_f16_e64 v130, v133, v130
	v_fma_f16 v133, v37, 0x3722, -v210
	v_add_f16_e32 v112, v112, v115
	v_add_f16_e64 v115, v207, v119
	v_fma_f16 v119, v46, 0x3b76, -v214
	v_fma_f16 v177, 0xb461, v121, v113
	v_add_f16_e64 v132, v133, v132
	v_fma_f16 v113, v121, 0xb461, -v113
	v_fma_f16 v133, v37, 0xbbdd, -v195
	v_add_f16_e64 v134, v135, v134
	v_add_f16_e64 v158, v177, v158
	;; [unrolled: 1-line block ×3, first 2 shown]
	v_add_f16_e32 v112, v113, v112
	v_add_f16_e64 v113, v211, v115
	v_fma_f16 v115, v40, 0xbbdd, -v218
	v_fma_f16 v177, 0x2de8, v39, v131
	v_add_f16_e64 v128, v128, v129
	v_fma_f16 v129, v37, 0xb461, -v227
	v_fma_f16 v132, v48, 0x39e9, -v180
	;; [unrolled: 1-line block ×3, first 2 shown]
	v_add_f16_e64 v158, v177, v158
	v_add_f16_e64 v119, v119, v128
	v_fma_f16 v128, v43, 0xb8d2, -v225
	v_add_f16_e64 v113, v220, v113
	v_add_f16_e64 v134, v135, v134
	;; [unrolled: 1-line block ×3, first 2 shown]
	v_add_f16_e32 v115, v115, v119
	v_add_f16_e64 v128, v104, v128
	v_fma_f16 v119, v39, 0x2de8, -v131
	v_fma_f16 v131, v37, 0xbacd, -v178
	v_add_f16_e64 v135, v155, v135
	v_add_f16_e64 v134, v136, v134
	;; [unrolled: 1-line block ×3, first 2 shown]
	v_fma_f16 v129, v48, 0x3b76, -v230
	v_add_f16_e32 v112, v119, v112
	v_fma_f16 v119, v121, 0x39e9, -v221
	v_add_f16_e64 v135, v157, v135
	v_fma_f16 v136, v46, 0x39e9, -v153
	v_add_f16_e64 v128, v129, v128
	v_fma_f16 v129, v41, 0xbacd, -v231
	v_add_f16_e32 v115, v119, v115
	v_fma_f16 v119, v39, 0xb461, -v228
	v_add_f16_e64 v135, v160, v135
	v_add_f16_e64 v134, v136, v134
	;; [unrolled: 1-line block ×3, first 2 shown]
	v_fma_f16 v129, v46, 0x2de8, -v232
	v_add_f16_e32 v115, v119, v115
	v_add_f16_e64 v119, v105, v215
	s_delay_alu instid0(VALU_DEP_3) | instskip(SKIP_1) | instid1(VALU_DEP_3)
	v_add_f16_e64 v128, v129, v128
	v_fma_f16 v129, v40, 0x39e9, -v233
	v_add_f16_e64 v119, v217, v119
	s_delay_alu instid0(VALU_DEP_2) | instskip(SKIP_1) | instid1(VALU_DEP_3)
	v_add_f16_e64 v128, v129, v128
	v_fma_f16 v129, v121, 0xbbdd, -v235
	v_add_f16_e64 v119, v219, v119
	s_delay_alu instid0(VALU_DEP_2) | instskip(SKIP_1) | instid1(VALU_DEP_3)
	;; [unrolled: 4-line block ×3, first 2 shown]
	v_add_f16_e64 v128, v129, v128
	v_fma_f16 v129, v43, 0xb461, -v176
	v_add_f16_e64 v119, v223, v119
	s_delay_alu instid0(VALU_DEP_2) | instskip(NEXT) | instid1(VALU_DEP_2)
	v_add_f16_e64 v129, v104, v129
	v_add_f16_e64 v119, v224, v119
	s_delay_alu instid0(VALU_DEP_2) | instskip(SKIP_1) | instid1(VALU_DEP_3)
	v_add_f16_e64 v129, v131, v129
	v_add_f16_e64 v131, v105, v183
	;; [unrolled: 1-line block ×3, first 2 shown]
	s_delay_alu instid0(VALU_DEP_3)
	v_add_f16_e64 v129, v132, v129
	v_fma_f16 v132, v43, 0x2de8, -v193
	v_fma_f16 v43, v43, 0x3b76, -v126
	v_add_f16_e64 v131, v185, v131
	v_add_f16_e64 v126, v161, v135
	;; [unrolled: 1-line block ×4, first 2 shown]
	v_add_f16_e32 v42, v104, v43
	v_fma_f16 v43, v37, 0x2de8, -v165
	v_fma_f16 v37, v37, 0x39e9, -v125
	v_add_f16_e64 v131, v187, v131
	v_add_f16_e64 v132, v133, v132
	v_fma_f16 v133, v41, 0x3722, -v181
	v_add_f16_e32 v38, v43, v38
	v_add_f16_e32 v37, v37, v42
	v_fma_f16 v42, v48, 0xb8d2, -v168
	v_add_f16_e64 v131, v190, v131
	v_add_f16_e64 v129, v133, v129
	v_fma_f16 v133, v48, 0xb461, -v198
	v_fma_f16 v48, v48, 0x3722, -v127
	v_add_f16_e32 v38, v42, v38
	v_add_f16_e64 v131, v191, v131
	v_add_f16_e64 v47, v162, v126
	;; [unrolled: 1-line block ×3, first 2 shown]
	v_fma_f16 v133, v46, 0xbbdd, -v182
	v_add_f16_e32 v37, v48, v37
	v_add_f16_e64 v131, v192, v131
	s_delay_alu instid0(VALU_DEP_3) | instskip(SKIP_1) | instid1(VALU_DEP_3)
	v_add_f16_e64 v129, v133, v129
	v_fma_f16 v133, v41, 0x3b76, -v199
	v_add_f16_e64 v131, v197, v131
	s_delay_alu instid0(VALU_DEP_2) | instskip(SKIP_1) | instid1(VALU_DEP_3)
	v_add_f16_e64 v132, v133, v132
	v_fma_f16 v133, v40, 0x2de8, -v186
	v_add_f16_e64 v131, v202, v131
	s_delay_alu instid0(VALU_DEP_2) | instskip(SKIP_1) | instid1(VALU_DEP_1)
	v_add_f16_e64 v129, v133, v129
	v_fma_f16 v133, v46, 0x3722, -v200
	v_add_f16_e64 v132, v133, v132
	v_fma_f16 v133, v121, 0x3b76, -v189
	s_delay_alu instid0(VALU_DEP_1) | instskip(SKIP_1) | instid1(VALU_DEP_1)
	v_add_f16_e64 v129, v133, v129
	v_fma_f16 v133, v40, 0xbacd, -v201
	v_add_f16_e64 v132, v133, v132
	v_fma_f16 v133, v39, 0xb8d2, -v196
	s_delay_alu instid0(VALU_DEP_1) | instskip(SKIP_1) | instid1(VALU_DEP_2)
	v_add_f16_e64 v129, v133, v129
	v_fma_f16 v133, v121, 0xb8d2, -v203
	v_pack_b32_f16 v45, v129, v57
	s_delay_alu instid0(VALU_DEP_2) | instskip(SKIP_1) | instid1(VALU_DEP_1)
	v_add_f16_e64 v132, v133, v132
	v_fma_f16 v133, v39, 0x39e9, -v204
	v_add_f16_e64 v132, v133, v132
	v_add_f16_e64 v133, v105, v146
	v_add_f16_e32 v105, v105, v124
	s_delay_alu instid0(VALU_DEP_2) | instskip(NEXT) | instid1(VALU_DEP_2)
	v_add_f16_e64 v133, v147, v133
	v_add_f16_e32 v43, v50, v105
	s_delay_alu instid0(VALU_DEP_2) | instskip(NEXT) | instid1(VALU_DEP_2)
	v_add_f16_e64 v133, v148, v133
	v_add_f16_e32 v42, v118, v43
	v_fma_f16 v43, v41, 0xbbdd, -v166
	v_fma_f16 v41, v41, 0x2de8, -v111
	s_delay_alu instid0(VALU_DEP_4) | instskip(NEXT) | instid1(VALU_DEP_4)
	v_add_f16_e64 v133, v142, v133
	v_add_f16_e32 v42, v117, v42
	s_delay_alu instid0(VALU_DEP_4) | instskip(NEXT) | instid1(VALU_DEP_4)
	v_add_f16_e32 v38, v43, v38
	v_add_f16_e32 v37, v41, v37
	v_fma_f16 v41, v46, 0xbacd, -v169
	v_add_f16_e64 v133, v141, v133
	v_fma_f16 v43, v46, 0xb461, -v109
	s_delay_alu instid0(VALU_DEP_3) | instskip(NEXT) | instid1(VALU_DEP_3)
	v_add_f16_e32 v38, v41, v38
	v_add_f16_e64 v116, v116, v133
	v_fma_f16 v133, v40, 0x3b76, -v156
	v_add_f16_e32 v41, v44, v42
	v_add_f16_e32 v37, v43, v37
	v_fma_f16 v42, v40, 0xb461, -v170
	v_fma_f16 v40, v40, 0xb8d2, -v108
	v_add_f16_e64 v133, v133, v134
	v_add_f16_e32 v26, v26, v41
	v_fma_f16 v41, v121, 0xbacd, -v107
	v_add_f16_e32 v38, v42, v38
	v_add_f16_e32 v37, v40, v37
	v_fma_f16 v40, v121, 0x3722, -v172
	v_add_f16_e32 v56, v56, v116
	v_add_f16_e64 v49, v49, v133
	v_add_f16_e64 v43, v144, v47
	v_add_f16_e32 v25, v25, v26
	v_add_f16_e32 v38, v40, v38
	;; [unrolled: 1-line block ×3, first 2 shown]
	v_fma_f16 v37, v39, 0xbacd, -v114
	v_fma_f16 v40, v39, 0x3b76, -v173
	v_fma_f16 v39, v39, 0xbbdd, -v58
	v_add_f16_e32 v46, v110, v56
	v_add_f16_e64 v41, v143, v43
	v_add_f16_e32 v37, v37, v49
	v_add_f16_e32 v38, v40, v38
	;; [unrolled: 1-line block ×4, first 2 shown]
	v_pack_b32_f16 v39, v112, v130
	v_pack_b32_f16 v40, v158, v145
	;; [unrolled: 1-line block ×8, first 2 shown]
	ds_store_2addr_b32 v54, v40, v39 offset0:8 offset1:9
	ds_store_2addr_b32 v54, v43, v42 offset0:10 offset1:11
	;; [unrolled: 1-line block ×4, first 2 shown]
	ds_store_b32 v54, v25 offset:64
.LBB0_13:
	s_wait_alu 0xfffe
	s_or_b32 exec_lo, exec_lo, s0
	v_add_nc_u32_e32 v25, 0x400, v55
	v_add_nc_u32_e32 v26, 0xc00, v55
	global_wb scope:SCOPE_SE
	s_wait_dscnt 0x0
	s_barrier_signal -1
	s_barrier_wait -1
	global_inv scope:SCOPE_SE
	ds_load_2addr_b32 v[40:41], v55 offset1:85
	ds_load_2addr_b32 v[42:43], v25 offset0:84 offset1:169
	ds_load_2addr_b32 v[44:45], v55 offset0:170 offset1:255
	;; [unrolled: 1-line block ×3, first 2 shown]
	ds_load_b32 v50, v55 offset:4760
	v_add_nc_u32_e32 v37, 0x600, v55
	v_add_nc_u32_e32 v38, 0xe00, v55
	;; [unrolled: 1-line block ×3, first 2 shown]
	ds_load_2addr_b32 v[48:49], v37 offset0:126 offset1:211
	ds_load_2addr_b32 v[56:57], v38 offset0:124 offset1:209
	;; [unrolled: 1-line block ×3, first 2 shown]
	global_wb scope:SCOPE_SE
	s_wait_dscnt 0x0
	s_barrier_signal -1
	s_barrier_wait -1
	global_inv scope:SCOPE_SE
	v_lshrrev_b32_e32 v106, 16, v44
	v_lshrrev_b32_e32 v109, 16, v43
	;; [unrolled: 1-line block ×7, first 2 shown]
	v_mul_f16_e32 v117, v77, v109
	v_mul_f16_e32 v120, v75, v110
	v_lshrrev_b32_e32 v113, 16, v49
	v_mul_f16_e32 v77, v77, v43
	v_lshrrev_b32_e32 v114, 16, v56
	v_fmac_f16_e32 v117, v35, v43
	v_mul_f16_e32 v43, v75, v46
	v_mul_f16_e32 v75, v76, v111
	v_fmac_f16_e32 v120, v36, v46
	v_mul_f16_e32 v46, v76, v48
	v_lshrrev_b32_e32 v115, 16, v104
	v_fma_f16 v36, v36, v110, -v43
	v_mul_f16_e32 v43, v74, v112
	v_fmac_f16_e32 v75, v33, v48
	v_mul_f16_e32 v48, v74, v47
	v_fma_f16 v33, v33, v111, -v46
	v_mul_f16_e32 v46, v72, v113
	v_lshrrev_b32_e32 v116, 16, v57
	v_fmac_f16_e32 v43, v34, v47
	v_mul_f16_e32 v47, v72, v49
	v_fma_f16 v34, v34, v112, -v48
	v_mul_f16_e32 v48, v70, v114
	v_fmac_f16_e32 v46, v31, v49
	v_mul_f16_e32 v49, v70, v56
	v_lshrrev_b32_e32 v119, 16, v105
	v_fma_f16 v31, v31, v113, -v47
	v_mul_f16_e32 v47, v73, v115
	v_fmac_f16_e32 v48, v32, v56
	v_mul_f16_e32 v56, v73, v104
	v_fma_f16 v32, v32, v114, -v49
	v_mul_f16_e32 v49, v71, v116
	v_fmac_f16_e32 v47, v29, v104
	v_mul_f16_e32 v70, v71, v57
	;; [unrolled: 4-line block ×3, first 2 shown]
	v_fma_f16 v35, v35, v109, -v77
	v_mul_f16_e32 v69, v68, v108
	v_mul_f16_e32 v68, v68, v50
	v_fmac_f16_e32 v56, v27, v105
	v_fma_f16 v27, v27, v119, -v57
	v_add_f16_e32 v57, v117, v120
	v_fmac_f16_e32 v69, v28, v50
	v_fma_f16 v28, v28, v108, -v68
	v_add_f16_e32 v68, v35, v36
	v_add_f16_e32 v50, v40, v117
	v_fma_f16 v40, -0.5, v57, v40
	v_sub_f16_e32 v57, v35, v36
	v_add_f16_e32 v35, v54, v35
	v_fmac_f16_e32 v54, -0.5, v68
	v_sub_f16_e32 v68, v117, v120
	v_lshrrev_b32_e32 v58, 16, v41
	v_fma_f16 v30, v30, v116, -v70
	v_add_f16_e32 v35, v35, v36
	v_add_f16_e32 v36, v75, v43
	v_fmamk_f16 v70, v57, 0xbaee, v40
	v_fmac_f16_e32 v40, 0x3aee, v57
	v_fmamk_f16 v57, v68, 0x3aee, v54
	v_add_f16_e32 v71, v41, v75
	v_fmac_f16_e32 v54, 0xbaee, v68
	v_add_f16_e32 v68, v33, v34
	v_fmac_f16_e32 v41, -0.5, v36
	v_sub_f16_e32 v36, v33, v34
	v_add_f16_e32 v33, v58, v33
	v_add_f16_e32 v71, v71, v43
	v_fmac_f16_e32 v58, -0.5, v68
	v_sub_f16_e32 v43, v75, v43
	v_fmamk_f16 v68, v36, 0xbaee, v41
	v_add_f16_e32 v33, v33, v34
	v_add_f16_e32 v34, v46, v48
	v_fmac_f16_e32 v41, 0x3aee, v36
	v_fmamk_f16 v36, v43, 0x3aee, v58
	v_fmac_f16_e32 v58, 0xbaee, v43
	v_add_f16_e32 v43, v31, v32
	v_add_f16_e32 v72, v44, v46
	v_fma_f16 v34, -0.5, v34, v44
	v_sub_f16_e32 v44, v31, v32
	v_add_f16_e32 v31, v106, v31
	v_fmac_f16_e32 v106, -0.5, v43
	v_sub_f16_e32 v43, v46, v48
	v_lshrrev_b32_e32 v107, 16, v45
	v_fmamk_f16 v46, v44, 0xbaee, v34
	v_add_f16_e32 v31, v31, v32
	v_add_f16_e32 v32, v47, v49
	v_fmac_f16_e32 v34, 0x3aee, v44
	v_fmamk_f16 v44, v43, 0x3aee, v106
	v_fmac_f16_e32 v106, 0xbaee, v43
	v_add_f16_e32 v43, v29, v30
	v_add_f16_e32 v72, v72, v48
	;; [unrolled: 1-line block ×3, first 2 shown]
	v_fmac_f16_e32 v45, -0.5, v32
	v_sub_f16_e32 v32, v29, v30
	v_add_f16_e32 v29, v107, v29
	v_fmac_f16_e32 v107, -0.5, v43
	v_sub_f16_e32 v43, v47, v49
	v_lshrrev_b32_e32 v118, 16, v42
	v_fmamk_f16 v47, v32, 0xbaee, v45
	v_add_f16_e32 v29, v29, v30
	v_add_f16_e32 v30, v56, v69
	v_fmac_f16_e32 v45, 0x3aee, v32
	v_fmamk_f16 v32, v43, 0x3aee, v107
	v_fmac_f16_e32 v107, 0xbaee, v43
	v_add_f16_e32 v43, v27, v28
	v_add_f16_e32 v50, v50, v120
	;; [unrolled: 1-line block ×4, first 2 shown]
	v_fmac_f16_e32 v42, -0.5, v30
	v_sub_f16_e32 v30, v27, v28
	v_add_f16_e32 v27, v118, v27
	v_fmac_f16_e32 v118, -0.5, v43
	v_sub_f16_e32 v43, v56, v69
	v_pack_b32_f16 v40, v40, v54
	v_fmamk_f16 v56, v30, 0xbaee, v42
	v_fmac_f16_e32 v42, 0x3aee, v30
	v_pack_b32_f16 v30, v50, v35
	v_pack_b32_f16 v35, v70, v57
	;; [unrolled: 1-line block ×4, first 2 shown]
	v_add_f16_e32 v49, v49, v69
	v_add_f16_e32 v27, v27, v28
	v_fmamk_f16 v28, v43, 0x3aee, v118
	v_pack_b32_f16 v41, v41, v58
	v_fmac_f16_e32 v118, 0xbaee, v43
	v_pack_b32_f16 v31, v72, v31
	v_pack_b32_f16 v43, v46, v44
	ds_store_2addr_b32 v62, v30, v35 offset1:17
	ds_store_b32 v62, v40 offset:136
	ds_store_2addr_b32 v63, v33, v36 offset1:17
	ds_store_b32 v63, v41 offset:136
	ds_store_2addr_b32 v61, v31, v43 offset1:17
	v_pack_b32_f16 v30, v34, v106
	v_pack_b32_f16 v29, v48, v29
	;; [unrolled: 1-line block ×7, first 2 shown]
	ds_store_b32 v61, v30 offset:136
	ds_store_2addr_b32 v60, v29, v31 offset1:17
	ds_store_b32 v60, v32 offset:136
	ds_store_2addr_b32 v59, v27, v28 offset1:17
	ds_store_b32 v59, v33 offset:136
	global_wb scope:SCOPE_SE
	s_wait_dscnt 0x0
	s_barrier_signal -1
	s_barrier_wait -1
	global_inv scope:SCOPE_SE
	ds_load_2addr_b32 v[27:28], v55 offset1:85
	ds_load_2addr_b32 v[29:30], v55 offset0:170 offset1:255
	ds_load_2addr_b32 v[31:32], v37 offset0:126 offset1:211
	;; [unrolled: 1-line block ×6, first 2 shown]
	ds_load_b32 v44, v55 offset:4760
	global_wb scope:SCOPE_SE
	s_wait_dscnt 0x0
	s_barrier_signal -1
	s_barrier_wait -1
	global_inv scope:SCOPE_SE
	v_lshrrev_b32_e32 v45, 16, v27
	v_lshrrev_b32_e32 v46, 16, v30
	;; [unrolled: 1-line block ×6, first 2 shown]
	v_mul_f16_e32 v68, v89, v46
	v_lshrrev_b32_e32 v56, 16, v32
	v_mul_f16_e32 v69, v89, v30
	v_mul_f16_e32 v70, v88, v47
	;; [unrolled: 1-line block ×4, first 2 shown]
	v_fmac_f16_e32 v68, v8, v30
	v_mul_f16_e32 v30, v87, v34
	v_lshrrev_b32_e32 v57, 16, v42
	v_lshrrev_b32_e32 v58, 16, v36
	v_fma_f16 v8, v8, v46, -v69
	v_fmac_f16_e32 v70, v9, v31
	v_fma_f16 v9, v9, v47, -v71
	v_fmac_f16_e32 v72, v10, v34
	v_mul_f16_e32 v31, v86, v49
	v_mul_f16_e32 v34, v86, v35
	;; [unrolled: 1-line block ×4, first 2 shown]
	v_fma_f16 v10, v10, v48, -v30
	v_mul_f16_e32 v30, v84, v56
	v_lshrrev_b32_e32 v60, 16, v41
	v_lshrrev_b32_e32 v61, 16, v33
	v_fmac_f16_e32 v31, v11, v35
	v_fma_f16 v11, v11, v49, -v34
	v_fmac_f16_e32 v46, v4, v40
	v_fma_f16 v4, v4, v54, -v47
	v_mul_f16_e32 v34, v84, v32
	v_mul_f16_e32 v35, v83, v57
	;; [unrolled: 1-line block ×4, first 2 shown]
	v_fmac_f16_e32 v30, v5, v32
	v_mul_f16_e32 v32, v82, v36
	v_lshrrev_b32_e32 v62, 16, v43
	v_fma_f16 v5, v5, v56, -v34
	v_fmac_f16_e32 v35, v6, v42
	v_fma_f16 v6, v6, v57, -v40
	v_fmac_f16_e32 v47, v7, v36
	v_mul_f16_e32 v34, v81, v60
	v_mul_f16_e32 v36, v81, v41
	v_mul_f16_e32 v40, v80, v61
	v_mul_f16_e32 v42, v80, v33
	v_fma_f16 v7, v7, v58, -v32
	v_add_f16_e32 v32, v70, v72
	v_lshrrev_b32_e32 v63, 16, v44
	v_fmac_f16_e32 v34, v0, v41
	v_fma_f16 v0, v0, v60, -v36
	v_fmac_f16_e32 v40, v1, v33
	v_fma_f16 v1, v1, v61, -v42
	v_mul_f16_e32 v33, v79, v62
	v_mul_f16_e32 v36, v79, v43
	v_add_f16_e32 v42, v27, v68
	v_fma_f16 v32, -0.5, v32, v27
	v_sub_f16_e32 v48, v8, v11
	v_mul_f16_e32 v41, v78, v63
	v_fmac_f16_e32 v33, v2, v43
	v_fma_f16 v2, v2, v62, -v36
	v_add_f16_e32 v36, v42, v70
	v_fmamk_f16 v42, v48, 0xbb9c, v32
	v_sub_f16_e32 v43, v9, v10
	v_sub_f16_e32 v49, v68, v70
	;; [unrolled: 1-line block ×3, first 2 shown]
	v_add_f16_e32 v56, v68, v31
	v_fmac_f16_e32 v32, 0x3b9c, v48
	v_fmac_f16_e32 v41, v3, v44
	v_mul_f16_e32 v44, v78, v44
	v_add_f16_e32 v36, v36, v72
	v_fmac_f16_e32 v42, 0xb8b4, v43
	v_add_f16_e32 v49, v49, v54
	v_fma_f16 v27, -0.5, v56, v27
	v_sub_f16_e32 v54, v70, v68
	v_sub_f16_e32 v56, v72, v31
	v_fmac_f16_e32 v32, 0x38b4, v43
	v_add_f16_e32 v57, v45, v8
	v_add_f16_e32 v58, v9, v10
	v_fma_f16 v3, v3, v63, -v44
	v_add_f16_e32 v36, v36, v31
	v_fmac_f16_e32 v42, 0x34f2, v49
	v_fmamk_f16 v44, v43, 0x3b9c, v27
	v_add_f16_e32 v54, v54, v56
	v_fmac_f16_e32 v27, 0xbb9c, v43
	v_add_f16_e32 v43, v57, v9
	v_fma_f16 v56, -0.5, v58, v45
	v_sub_f16_e32 v31, v68, v31
	v_fmac_f16_e32 v32, 0x34f2, v49
	v_add_f16_e32 v49, v8, v11
	v_sub_f16_e32 v58, v8, v9
	v_sub_f16_e32 v8, v9, v8
	;; [unrolled: 1-line block ×3, first 2 shown]
	v_fmac_f16_e32 v44, 0xb8b4, v48
	v_fmac_f16_e32 v27, 0x38b4, v48
	v_add_f16_e32 v43, v43, v10
	v_fmamk_f16 v48, v31, 0x3b9c, v56
	v_sub_f16_e32 v57, v70, v72
	v_sub_f16_e32 v60, v11, v10
	v_fmac_f16_e32 v45, -0.5, v49
	v_fmac_f16_e32 v56, 0xbb9c, v31
	v_add_f16_e32 v10, v30, v35
	v_add_f16_e32 v8, v8, v9
	;; [unrolled: 1-line block ×3, first 2 shown]
	v_lshrrev_b32_e32 v50, 16, v28
	v_fmac_f16_e32 v44, 0x34f2, v54
	v_fmac_f16_e32 v27, 0x34f2, v54
	v_add_f16_e32 v43, v43, v11
	v_fmac_f16_e32 v48, 0x38b4, v57
	v_add_f16_e32 v49, v58, v60
	v_fmamk_f16 v54, v57, 0xbb9c, v45
	v_fmac_f16_e32 v56, 0xb8b4, v57
	v_fma_f16 v10, -0.5, v10, v28
	v_sub_f16_e32 v11, v4, v7
	v_fmac_f16_e32 v45, 0x3b9c, v57
	v_add_f16_e32 v9, v9, v30
	v_sub_f16_e32 v58, v46, v30
	v_sub_f16_e32 v60, v47, v35
	v_add_f16_e32 v61, v46, v47
	v_fmac_f16_e32 v48, 0x34f2, v49
	v_fmac_f16_e32 v54, 0x38b4, v31
	;; [unrolled: 1-line block ×3, first 2 shown]
	v_fmamk_f16 v49, v11, 0xbb9c, v10
	v_sub_f16_e32 v57, v5, v6
	v_fmac_f16_e32 v45, 0xb8b4, v31
	v_add_f16_e32 v9, v9, v35
	v_add_f16_e32 v31, v58, v60
	v_fmac_f16_e32 v28, -0.5, v61
	v_fmac_f16_e32 v10, 0x3b9c, v11
	v_sub_f16_e32 v58, v30, v46
	v_sub_f16_e32 v60, v35, v47
	v_add_f16_e32 v61, v50, v4
	v_add_f16_e32 v62, v5, v6
	v_fmac_f16_e32 v54, 0x34f2, v8
	v_fmac_f16_e32 v49, 0xb8b4, v57
	;; [unrolled: 1-line block ×3, first 2 shown]
	v_add_f16_e32 v8, v9, v47
	v_fmamk_f16 v9, v57, 0x3b9c, v28
	v_fmac_f16_e32 v10, 0x38b4, v57
	v_add_f16_e32 v58, v58, v60
	v_fmac_f16_e32 v28, 0xbb9c, v57
	v_add_f16_e32 v57, v61, v5
	v_fma_f16 v60, -0.5, v62, v50
	v_sub_f16_e32 v46, v46, v47
	v_add_f16_e32 v47, v4, v7
	v_fmac_f16_e32 v49, 0x34f2, v31
	v_fmac_f16_e32 v9, 0xb8b4, v11
	;; [unrolled: 1-line block ×4, first 2 shown]
	v_add_f16_e32 v11, v57, v6
	v_fmamk_f16 v31, v46, 0x3b9c, v60
	v_sub_f16_e32 v30, v30, v35
	v_sub_f16_e32 v35, v4, v5
	;; [unrolled: 1-line block ×3, first 2 shown]
	v_fmac_f16_e32 v50, -0.5, v47
	v_fmac_f16_e32 v60, 0xbb9c, v46
	v_sub_f16_e32 v4, v5, v4
	v_sub_f16_e32 v5, v6, v7
	v_add_f16_e32 v6, v40, v33
	v_add_f16_e32 v11, v11, v7
	v_fmac_f16_e32 v31, 0x38b4, v30
	v_add_f16_e32 v35, v35, v57
	v_fmamk_f16 v47, v30, 0xbb9c, v50
	v_fmac_f16_e32 v60, 0xb8b4, v30
	v_add_f16_e32 v4, v4, v5
	v_fmac_f16_e32 v50, 0x3b9c, v30
	v_add_f16_e32 v5, v29, v34
	v_fma_f16 v6, -0.5, v6, v29
	v_sub_f16_e32 v7, v0, v3
	v_fmac_f16_e32 v9, 0x34f2, v58
	v_fmac_f16_e32 v28, 0x34f2, v58
	;; [unrolled: 1-line block ×6, first 2 shown]
	v_add_f16_e32 v5, v5, v40
	v_fmamk_f16 v30, v7, 0xbb9c, v6
	v_sub_f16_e32 v35, v1, v2
	v_sub_f16_e32 v46, v34, v40
	;; [unrolled: 1-line block ×3, first 2 shown]
	v_fmac_f16_e32 v6, 0x3b9c, v7
	v_add_f16_e32 v58, v34, v41
	v_lshrrev_b32_e32 v59, 16, v29
	v_add_f16_e32 v5, v5, v33
	v_fmac_f16_e32 v30, 0xb8b4, v35
	v_add_f16_e32 v46, v46, v57
	v_fmac_f16_e32 v6, 0x38b4, v35
	v_fmac_f16_e32 v29, -0.5, v58
	v_sub_f16_e32 v57, v40, v34
	v_sub_f16_e32 v58, v33, v41
	v_fmac_f16_e32 v47, 0x34f2, v4
	v_fmac_f16_e32 v50, 0x34f2, v4
	v_add_f16_e32 v4, v5, v41
	v_fmac_f16_e32 v30, 0x34f2, v46
	v_fmac_f16_e32 v6, 0x34f2, v46
	v_fmamk_f16 v5, v35, 0x3b9c, v29
	v_add_f16_e32 v46, v1, v2
	v_fmac_f16_e32 v29, 0xbb9c, v35
	v_sub_f16_e32 v34, v34, v41
	v_add_f16_e32 v41, v57, v58
	v_add_f16_e32 v57, v0, v3
	;; [unrolled: 1-line block ×3, first 2 shown]
	v_fma_f16 v46, -0.5, v46, v59
	v_fmac_f16_e32 v5, 0xb8b4, v7
	v_fmac_f16_e32 v29, 0x38b4, v7
	v_sub_f16_e32 v33, v40, v33
	v_fmac_f16_e32 v59, -0.5, v57
	v_add_f16_e32 v7, v35, v1
	v_fmamk_f16 v35, v34, 0x3b9c, v46
	v_fmac_f16_e32 v5, 0x34f2, v41
	v_fmac_f16_e32 v29, 0x34f2, v41
	v_sub_f16_e32 v40, v0, v1
	v_sub_f16_e32 v41, v3, v2
	v_fmac_f16_e32 v46, 0xbb9c, v34
	v_fmamk_f16 v57, v33, 0xbb9c, v59
	v_sub_f16_e32 v0, v1, v0
	v_sub_f16_e32 v1, v2, v3
	v_fmac_f16_e32 v59, 0x3b9c, v33
	v_add_f16_e32 v7, v7, v2
	v_fmac_f16_e32 v35, 0x38b4, v33
	v_add_f16_e32 v2, v40, v41
	v_fmac_f16_e32 v46, 0xb8b4, v33
	v_fmac_f16_e32 v57, 0x38b4, v34
	v_add_f16_e32 v0, v0, v1
	v_fmac_f16_e32 v59, 0xb8b4, v34
	v_fmac_f16_e32 v35, 0x34f2, v2
	;; [unrolled: 1-line block ×3, first 2 shown]
	v_pack_b32_f16 v2, v42, v48
	v_fmac_f16_e32 v57, 0x34f2, v0
	v_fmac_f16_e32 v59, 0x34f2, v0
	v_pack_b32_f16 v0, v36, v43
	v_add_f16_e32 v1, v7, v3
	v_pack_b32_f16 v3, v44, v54
	v_pack_b32_f16 v7, v27, v45
	v_pack_b32_f16 v27, v32, v56
	v_pack_b32_f16 v8, v8, v11
	v_pack_b32_f16 v11, v49, v31
	ds_store_2addr_b32 v66, v0, v2 offset1:51
	ds_store_2addr_b32 v66, v3, v7 offset0:102 offset1:153
	ds_store_b32 v66, v27 offset:816
	ds_store_2addr_b32 v65, v8, v11 offset1:51
	v_pack_b32_f16 v0, v9, v47
	v_pack_b32_f16 v2, v28, v50
	;; [unrolled: 1-line block ×8, first 2 shown]
	ds_store_2addr_b32 v65, v0, v2 offset0:102 offset1:153
	ds_store_b32 v65, v3 offset:816
	ds_store_2addr_b32 v64, v1, v4 offset1:51
	ds_store_2addr_b32 v64, v5, v7 offset0:102 offset1:153
	ds_store_b32 v64, v6 offset:816
	global_wb scope:SCOPE_SE
	s_wait_dscnt 0x0
	s_barrier_signal -1
	s_barrier_wait -1
	global_inv scope:SCOPE_SE
	ds_load_2addr_b32 v[0:1], v55 offset1:85
	ds_load_2addr_b32 v[2:3], v55 offset0:170 offset1:255
	ds_load_2addr_b32 v[4:5], v37 offset0:126 offset1:211
	ds_load_2addr_b32 v[6:7], v39 offset0:168 offset1:253
	ds_load_2addr_b32 v[8:9], v38 offset0:124 offset1:209
	ds_load_2addr_b32 v[10:11], v25 offset0:84 offset1:169
	ds_load_2addr_b32 v[25:26], v26 offset0:82 offset1:167
	ds_load_b32 v27, v55 offset:4760
	s_wait_dscnt 0x7
	v_lshrrev_b32_e32 v28, 16, v0
	s_wait_dscnt 0x6
	v_lshrrev_b32_e32 v29, 16, v3
	;; [unrolled: 2-line block ×6, first 2 shown]
	v_mul_f16_e32 v43, v101, v29
	v_mul_f16_e32 v44, v101, v3
	;; [unrolled: 1-line block ×5, first 2 shown]
	v_lshrrev_b32_e32 v35, 16, v5
	s_wait_dscnt 0x1
	v_lshrrev_b32_e32 v36, 16, v25
	v_fmac_f16_e32 v43, v20, v3
	v_fma_f16 v3, v20, v29, -v44
	v_fmac_f16_e32 v45, v21, v4
	v_fma_f16 v4, v21, v30, -v46
	v_fmac_f16_e32 v47, v22, v7
	v_mul_f16_e32 v7, v99, v7
	v_mul_f16_e32 v20, v98, v32
	;; [unrolled: 1-line block ×5, first 2 shown]
	v_lshrrev_b32_e32 v37, 16, v9
	v_lshrrev_b32_e32 v39, 16, v11
	v_fma_f16 v7, v22, v31, -v7
	v_fmac_f16_e32 v20, v23, v8
	v_fma_f16 v8, v23, v32, -v21
	v_fmac_f16_e32 v29, v16, v10
	v_fma_f16 v10, v16, v34, -v30
	v_mul_f16_e32 v16, v96, v35
	v_mul_f16_e32 v21, v96, v5
	;; [unrolled: 1-line block ×4, first 2 shown]
	v_lshrrev_b32_e32 v40, 16, v6
	v_mul_f16_e32 v30, v94, v37
	v_fmac_f16_e32 v16, v17, v5
	v_fma_f16 v5, v17, v35, -v21
	v_fmac_f16_e32 v22, v18, v25
	v_fma_f16 v17, v18, v36, -v23
	v_mul_f16_e32 v18, v93, v39
	v_mul_f16_e32 v21, v93, v11
	v_lshrrev_b32_e32 v41, 16, v26
	v_fmac_f16_e32 v30, v19, v9
	v_mul_f16_e32 v9, v94, v9
	v_mul_f16_e32 v23, v92, v40
	;; [unrolled: 1-line block ×3, first 2 shown]
	v_fmac_f16_e32 v18, v12, v11
	v_fma_f16 v11, v12, v39, -v21
	v_add_f16_e32 v12, v45, v47
	s_wait_dscnt 0x0
	v_lshrrev_b32_e32 v42, 16, v27
	v_fma_f16 v9, v19, v37, -v9
	v_fmac_f16_e32 v23, v13, v6
	v_fma_f16 v6, v13, v40, -v25
	v_mul_f16_e32 v13, v91, v41
	v_mul_f16_e32 v19, v91, v26
	v_add_f16_e32 v25, v0, v43
	v_fma_f16 v12, -0.5, v12, v0
	v_sub_f16_e32 v31, v3, v8
	v_mul_f16_e32 v21, v90, v42
	v_fmac_f16_e32 v13, v14, v26
	v_fma_f16 v14, v14, v41, -v19
	v_add_f16_e32 v19, v25, v45
	v_fmamk_f16 v25, v31, 0xbb9c, v12
	v_sub_f16_e32 v26, v4, v7
	v_sub_f16_e32 v32, v43, v45
	;; [unrolled: 1-line block ×3, first 2 shown]
	v_add_f16_e32 v35, v43, v20
	v_fmac_f16_e32 v12, 0x3b9c, v31
	v_fmac_f16_e32 v21, v15, v27
	v_mul_f16_e32 v27, v90, v27
	v_add_f16_e32 v19, v19, v47
	v_fmac_f16_e32 v25, 0xb8b4, v26
	v_add_f16_e32 v32, v32, v34
	v_fma_f16 v0, -0.5, v35, v0
	v_sub_f16_e32 v34, v45, v43
	v_sub_f16_e32 v35, v47, v20
	v_fmac_f16_e32 v12, 0x38b4, v26
	v_add_f16_e32 v36, v28, v3
	v_add_f16_e32 v37, v4, v7
	v_fma_f16 v15, v15, v42, -v27
	v_add_f16_e32 v19, v19, v20
	v_fmac_f16_e32 v25, 0x34f2, v32
	v_fmamk_f16 v27, v26, 0x3b9c, v0
	v_add_f16_e32 v34, v34, v35
	v_fmac_f16_e32 v0, 0xbb9c, v26
	v_add_f16_e32 v26, v36, v4
	v_fma_f16 v35, -0.5, v37, v28
	v_sub_f16_e32 v20, v43, v20
	v_fmac_f16_e32 v12, 0x34f2, v32
	v_add_f16_e32 v32, v3, v8
	v_sub_f16_e32 v37, v3, v4
	v_sub_f16_e32 v3, v4, v3
	;; [unrolled: 1-line block ×3, first 2 shown]
	v_fmac_f16_e32 v27, 0xb8b4, v31
	v_fmac_f16_e32 v0, 0x38b4, v31
	v_add_f16_e32 v26, v26, v7
	v_fmamk_f16 v31, v20, 0x3b9c, v35
	v_sub_f16_e32 v36, v45, v47
	v_sub_f16_e32 v39, v8, v7
	v_fmac_f16_e32 v28, -0.5, v32
	v_fmac_f16_e32 v35, 0xbb9c, v20
	v_add_f16_e32 v7, v16, v22
	v_add_f16_e32 v3, v3, v4
	v_add_f16_e32 v4, v1, v29
	v_lshrrev_b32_e32 v33, 16, v1
	v_fmac_f16_e32 v27, 0x34f2, v34
	v_fmac_f16_e32 v0, 0x34f2, v34
	v_add_f16_e32 v26, v26, v8
	v_fmac_f16_e32 v31, 0x38b4, v36
	v_add_f16_e32 v32, v37, v39
	v_fmamk_f16 v34, v36, 0xbb9c, v28
	v_fmac_f16_e32 v35, 0xb8b4, v36
	v_fma_f16 v7, -0.5, v7, v1
	v_sub_f16_e32 v8, v10, v9
	v_fmac_f16_e32 v28, 0x3b9c, v36
	v_add_f16_e32 v4, v4, v16
	v_add_f16_e32 v40, v29, v30
	v_fmac_f16_e32 v31, 0x34f2, v32
	v_fmac_f16_e32 v34, 0x38b4, v20
	;; [unrolled: 1-line block ×3, first 2 shown]
	v_fmamk_f16 v32, v8, 0xbb9c, v7
	v_sub_f16_e32 v36, v5, v17
	v_fmac_f16_e32 v28, 0xb8b4, v20
	v_add_f16_e32 v4, v4, v22
	v_fmac_f16_e32 v1, -0.5, v40
	v_fmac_f16_e32 v7, 0x3b9c, v8
	v_add_f16_e32 v40, v33, v10
	v_fmac_f16_e32 v34, 0x34f2, v3
	v_sub_f16_e32 v37, v29, v16
	v_sub_f16_e32 v39, v30, v22
	v_fmac_f16_e32 v32, 0xb8b4, v36
	v_fmac_f16_e32 v28, 0x34f2, v3
	v_add_f16_e32 v3, v4, v30
	v_fmamk_f16 v4, v36, 0x3b9c, v1
	v_fmac_f16_e32 v7, 0x38b4, v36
	v_fmac_f16_e32 v1, 0xbb9c, v36
	v_add_f16_e32 v36, v40, v5
	v_add_f16_e32 v20, v37, v39
	v_sub_f16_e32 v37, v16, v29
	v_sub_f16_e32 v39, v22, v30
	v_add_f16_e32 v41, v5, v17
	v_fmac_f16_e32 v4, 0xb8b4, v8
	v_sub_f16_e32 v29, v29, v30
	v_fmac_f16_e32 v1, 0x38b4, v8
	v_add_f16_e32 v8, v36, v17
	v_add_f16_e32 v30, v10, v9
	;; [unrolled: 1-line block ×3, first 2 shown]
	v_fma_f16 v39, -0.5, v41, v33
	v_sub_f16_e32 v16, v16, v22
	v_sub_f16_e32 v22, v10, v5
	;; [unrolled: 1-line block ×3, first 2 shown]
	v_fmac_f16_e32 v33, -0.5, v30
	v_add_f16_e32 v8, v8, v9
	v_sub_f16_e32 v5, v5, v10
	v_sub_f16_e32 v9, v17, v9
	v_fmac_f16_e32 v32, 0x34f2, v20
	v_fmac_f16_e32 v7, 0x34f2, v20
	v_fmamk_f16 v20, v29, 0x3b9c, v39
	v_fmac_f16_e32 v39, 0xbb9c, v29
	v_fmamk_f16 v30, v16, 0xbb9c, v33
	v_add_f16_e32 v5, v5, v9
	v_add_f16_e32 v9, v2, v18
	v_fmac_f16_e32 v33, 0x3b9c, v16
	v_fmac_f16_e32 v20, 0x38b4, v16
	v_add_f16_e32 v22, v22, v36
	v_add_f16_e32 v10, v23, v13
	v_fmac_f16_e32 v39, 0xb8b4, v16
	v_fmac_f16_e32 v30, 0x38b4, v29
	v_add_f16_e32 v9, v9, v23
	v_fmac_f16_e32 v33, 0xb8b4, v29
	v_add_f16_e32 v29, v18, v21
	v_lshrrev_b32_e32 v38, 16, v2
	v_fmac_f16_e32 v4, 0x34f2, v37
	v_fmac_f16_e32 v1, 0x34f2, v37
	;; [unrolled: 1-line block ×3, first 2 shown]
	v_fma_f16 v10, -0.5, v10, v2
	v_fmac_f16_e32 v39, 0x34f2, v22
	v_sub_f16_e32 v22, v6, v14
	v_sub_f16_e32 v36, v18, v23
	;; [unrolled: 1-line block ×3, first 2 shown]
	v_add_f16_e32 v9, v9, v13
	v_fmac_f16_e32 v2, -0.5, v29
	v_sub_f16_e32 v17, v11, v15
	v_fmac_f16_e32 v30, 0x34f2, v5
	v_add_f16_e32 v36, v36, v37
	v_fmac_f16_e32 v33, 0x34f2, v5
	v_add_f16_e32 v5, v9, v21
	v_fmamk_f16 v9, v22, 0x3b9c, v2
	v_sub_f16_e32 v29, v23, v18
	v_sub_f16_e32 v37, v13, v21
	v_fmac_f16_e32 v2, 0xbb9c, v22
	v_fmamk_f16 v16, v17, 0xbb9c, v10
	v_fmac_f16_e32 v10, 0x3b9c, v17
	v_fmac_f16_e32 v9, 0xb8b4, v17
	v_add_f16_e32 v29, v29, v37
	v_fmac_f16_e32 v2, 0x38b4, v17
	v_fmac_f16_e32 v16, 0xb8b4, v22
	;; [unrolled: 1-line block ×3, first 2 shown]
	v_add_f16_e32 v22, v38, v11
	v_add_f16_e32 v40, v6, v14
	v_fmac_f16_e32 v9, 0x34f2, v29
	v_fmac_f16_e32 v2, 0x34f2, v29
	v_add_f16_e32 v29, v11, v15
	v_add_f16_e32 v17, v22, v6
	v_fma_f16 v22, -0.5, v40, v38
	v_sub_f16_e32 v18, v18, v21
	v_sub_f16_e32 v13, v23, v13
	v_fmac_f16_e32 v38, -0.5, v29
	v_fmac_f16_e32 v16, 0x34f2, v36
	v_fmac_f16_e32 v10, 0x34f2, v36
	v_fmamk_f16 v21, v18, 0x3b9c, v22
	v_sub_f16_e32 v23, v11, v6
	v_sub_f16_e32 v36, v15, v14
	v_fmamk_f16 v29, v13, 0xbb9c, v38
	v_sub_f16_e32 v6, v6, v11
	v_sub_f16_e32 v11, v14, v15
	v_fmac_f16_e32 v22, 0xbb9c, v18
	v_fmac_f16_e32 v38, 0x3b9c, v13
	v_add_f16_e32 v17, v17, v14
	v_fmac_f16_e32 v21, 0x38b4, v13
	v_add_f16_e32 v23, v23, v36
	;; [unrolled: 2-line block ×3, first 2 shown]
	v_fmac_f16_e32 v22, 0xb8b4, v13
	v_fmac_f16_e32 v38, 0xb8b4, v18
	v_pack_b32_f16 v11, v19, v26
	v_add_f16_e32 v17, v17, v15
	v_pack_b32_f16 v13, v25, v31
	v_pack_b32_f16 v14, v27, v34
	v_add_nc_u32_e32 v15, 0x3fc, v53
	v_pack_b32_f16 v0, v0, v28
	v_pack_b32_f16 v12, v12, v35
	v_add_nc_u32_e32 v18, 0xbf4, v53
	v_fmac_f16_e32 v21, 0x34f2, v23
	v_fmac_f16_e32 v29, 0x34f2, v6
	;; [unrolled: 1-line block ×4, first 2 shown]
	ds_store_b32 v67, v11
	ds_store_2addr_b32 v15, v13, v14 offset1:255
	ds_store_2addr_b32 v18, v0, v12 offset1:255
	v_pack_b32_f16 v0, v3, v8
	v_pack_b32_f16 v3, v32, v20
	;; [unrolled: 1-line block ×3, first 2 shown]
	v_add_nc_u32_e32 v6, 0x3fc, v103
	v_pack_b32_f16 v1, v1, v33
	v_pack_b32_f16 v7, v7, v39
	v_add_nc_u32_e32 v8, 0xbf4, v103
	v_pack_b32_f16 v5, v5, v17
	v_pack_b32_f16 v11, v16, v21
	;; [unrolled: 1-line block ×3, first 2 shown]
	v_add_nc_u32_e32 v12, 0x3fc, v102
	v_pack_b32_f16 v2, v2, v38
	v_pack_b32_f16 v10, v10, v22
	v_add_nc_u32_e32 v13, 0xbf4, v102
	ds_store_2addr_b32 v6, v3, v4 offset1:255
	ds_store_2addr_b32 v8, v1, v7 offset1:255
	ds_store_2addr_b32 v53, v0, v5 offset0:85 offset1:170
	ds_store_2addr_b32 v12, v11, v9 offset1:255
	ds_store_2addr_b32 v13, v2, v10 offset1:255
	global_wb scope:SCOPE_SE
	s_wait_dscnt 0x0
	s_barrier_signal -1
	s_barrier_wait -1
	global_inv scope:SCOPE_SE
	s_and_b32 exec_lo, exec_lo, vcc_lo
	s_cbranch_execz .LBB0_15
; %bb.14:
	global_load_b32 v0, v51, s[8:9]
	ds_load_b32 v1, v67
	s_mov_b32 s10, 0xe68019b3
	s_mov_b32 s11, 0x3f49b34c
	v_mad_co_u64_u32 v[6:7], null, s4, v52, 0
	s_wait_dscnt 0x0
	v_lshrrev_b32_e32 v2, 16, v1
	s_wait_loadcnt 0x0
	v_lshrrev_b32_e32 v3, 16, v0
	s_delay_alu instid0(VALU_DEP_1) | instskip(SKIP_1) | instid1(VALU_DEP_2)
	v_mul_f16_e32 v4, v2, v3
	v_mul_f16_e32 v3, v1, v3
	v_fmac_f16_e32 v4, v1, v0
	s_delay_alu instid0(VALU_DEP_2) | instskip(NEXT) | instid1(VALU_DEP_2)
	v_fma_f16 v0, v0, v2, -v3
	v_cvt_f32_f16_e32 v1, v4
	s_delay_alu instid0(VALU_DEP_2) | instskip(SKIP_1) | instid1(VALU_DEP_3)
	v_cvt_f32_f16_e32 v2, v0
	v_mad_co_u64_u32 v[4:5], null, s6, v24, 0
	v_cvt_f64_f32_e32 v[0:1], v1
	s_delay_alu instid0(VALU_DEP_3) | instskip(SKIP_1) | instid1(VALU_DEP_2)
	v_cvt_f64_f32_e32 v[2:3], v2
	s_wait_alu 0xfffe
	v_mul_f64_e32 v[0:1], s[10:11], v[0:1]
	s_delay_alu instid0(VALU_DEP_2) | instskip(NEXT) | instid1(VALU_DEP_2)
	v_mul_f64_e32 v[2:3], s[10:11], v[2:3]
	v_and_or_b32 v0, 0x1ff, v1, v0
	s_delay_alu instid0(VALU_DEP_2)
	v_and_or_b32 v2, 0x1ff, v3, v2
	v_lshrrev_b32_e32 v8, 8, v1
	v_bfe_u32 v10, v1, 20, 11
	v_lshrrev_b32_e32 v9, 8, v3
	v_cmp_ne_u32_e32 vcc_lo, 0, v0
	v_bfe_u32 v11, v3, 20, 11
	v_mov_b32_e32 v0, v7
	v_sub_nc_u32_e32 v13, 0x3f1, v10
	v_lshrrev_b32_e32 v3, 16, v3
	v_cndmask_b32_e64 v12, 0, 1, vcc_lo
	v_cmp_ne_u32_e32 vcc_lo, 0, v2
	v_sub_nc_u32_e32 v14, 0x3f1, v11
	v_med3_i32 v13, v13, 0, 13
	s_delay_alu instid0(VALU_DEP_4)
	v_and_or_b32 v12, 0xffe, v8, v12
	s_wait_alu 0xfffd
	v_cndmask_b32_e64 v2, 0, 1, vcc_lo
	v_mad_co_u64_u32 v[7:8], null, s7, v24, v[5:6]
	v_med3_i32 v14, v14, 0, 13
	v_or_b32_e32 v15, 0x1000, v12
	s_delay_alu instid0(VALU_DEP_4) | instskip(NEXT) | instid1(VALU_DEP_4)
	v_and_or_b32 v2, 0xffe, v9, v2
	v_mov_b32_e32 v5, v7
	s_delay_alu instid0(VALU_DEP_2) | instskip(SKIP_2) | instid1(VALU_DEP_4)
	v_or_b32_e32 v16, 0x1000, v2
	v_mad_co_u64_u32 v[8:9], null, s5, v52, v[0:1]
	v_lshrrev_b32_e32 v0, v13, v15
	v_lshlrev_b64_e32 v[4:5], 2, v[4:5]
	s_delay_alu instid0(VALU_DEP_4) | instskip(SKIP_1) | instid1(VALU_DEP_3)
	v_lshrrev_b32_e32 v9, v14, v16
	s_mul_u64 s[4:5], s[4:5], 0x12c
	v_lshlrev_b32_e32 v13, v13, v0
	s_delay_alu instid0(VALU_DEP_2) | instskip(NEXT) | instid1(VALU_DEP_2)
	v_dual_mov_b32 v7, v8 :: v_dual_lshlrev_b32 v8, v14, v9
	v_cmp_ne_u32_e32 vcc_lo, v13, v15
	s_wait_alu 0xfffd
	v_cndmask_b32_e64 v13, 0, 1, vcc_lo
	s_delay_alu instid0(VALU_DEP_3) | instskip(NEXT) | instid1(VALU_DEP_2)
	v_cmp_ne_u32_e32 vcc_lo, v8, v16
	v_or_b32_e32 v0, v0, v13
	v_add_nc_u32_e32 v11, 0xfffffc10, v11
	s_wait_alu 0xfffd
	v_cndmask_b32_e64 v8, 0, 1, vcc_lo
	s_delay_alu instid0(VALU_DEP_2) | instskip(NEXT) | instid1(VALU_DEP_2)
	v_lshl_or_b32 v13, v11, 12, v2
	v_or_b32_e32 v8, v9, v8
	v_add_nc_u32_e32 v10, 0xfffffc10, v10
	v_lshrrev_b32_e32 v9, 16, v1
	s_delay_alu instid0(VALU_DEP_2) | instskip(SKIP_2) | instid1(VALU_DEP_2)
	v_lshl_or_b32 v14, v10, 12, v12
	v_cmp_gt_i32_e32 vcc_lo, 1, v10
	s_wait_alu 0xfffd
	v_cndmask_b32_e32 v0, v14, v0, vcc_lo
	v_cmp_gt_i32_e32 vcc_lo, 1, v11
	s_wait_alu 0xfffd
	v_cndmask_b32_e32 v1, v13, v8, vcc_lo
	v_cmp_ne_u32_e32 vcc_lo, 0, v12
	v_and_b32_e32 v12, 7, v0
	v_lshrrev_b32_e32 v0, 2, v0
	s_wait_alu 0xfffd
	v_cndmask_b32_e64 v8, 0, 1, vcc_lo
	v_cmp_ne_u32_e32 vcc_lo, 0, v2
	v_cmp_eq_u32_e64 s0, 3, v12
	s_delay_alu instid0(VALU_DEP_3) | instskip(SKIP_3) | instid1(VALU_DEP_2)
	v_lshl_or_b32 v8, v8, 9, 0x7c00
	s_wait_alu 0xfffd
	v_cndmask_b32_e64 v2, 0, 1, vcc_lo
	v_cmp_lt_i32_e32 vcc_lo, 5, v12
	v_lshl_or_b32 v2, v2, 9, 0x7c00
	s_or_b32 vcc_lo, s0, vcc_lo
	s_wait_alu 0xfffe
	v_add_co_ci_u32_e32 v0, vcc_lo, 0, v0, vcc_lo
	v_and_b32_e32 v13, 7, v1
	v_lshrrev_b32_e32 v1, 2, v1
	s_delay_alu instid0(VALU_DEP_2) | instskip(SKIP_1) | instid1(VALU_DEP_1)
	v_cmp_lt_i32_e64 s1, 5, v13
	v_cmp_eq_u32_e64 s2, 3, v13
	s_or_b32 vcc_lo, s2, s1
	s_wait_alu 0xfffe
	v_add_co_ci_u32_e32 v1, vcc_lo, 0, v1, vcc_lo
	v_cmp_gt_i32_e32 vcc_lo, 31, v10
	s_wait_alu 0xfffd
	v_cndmask_b32_e32 v0, 0x7c00, v0, vcc_lo
	v_cmp_gt_i32_e32 vcc_lo, 31, v11
	s_wait_alu 0xfffd
	v_cndmask_b32_e32 v12, 0x7c00, v1, vcc_lo
	v_cmp_eq_u32_e32 vcc_lo, 0x40f, v10
	s_wait_alu 0xfffd
	v_cndmask_b32_e32 v8, v0, v8, vcc_lo
	v_cmp_eq_u32_e32 vcc_lo, 0x40f, v11
	v_lshlrev_b64_e32 v[0:1], 2, v[6:7]
	s_delay_alu instid0(VALU_DEP_3)
	v_and_or_b32 v6, 0x8000, v9, v8
	s_wait_alu 0xfffd
	v_cndmask_b32_e32 v2, v12, v2, vcc_lo
	v_add_co_u32 v4, vcc_lo, s12, v4
	s_wait_alu 0xfffd
	v_add_co_ci_u32_e32 v5, vcc_lo, s13, v5, vcc_lo
	s_delay_alu instid0(VALU_DEP_3) | instskip(SKIP_4) | instid1(VALU_DEP_3)
	v_and_or_b32 v2, 0x8000, v3, v2
	v_and_b32_e32 v3, 0xffff, v6
	v_add_co_u32 v0, vcc_lo, v4, v0
	s_wait_alu 0xfffd
	v_add_co_ci_u32_e32 v1, vcc_lo, v5, v1, vcc_lo
	v_lshl_or_b32 v2, v2, 16, v3
	global_store_b32 v[0:1], v2, off
	global_load_b32 v4, v51, s[8:9] offset:300
	ds_load_2addr_b32 v[2:3], v53 offset0:75 offset1:150
	s_wait_dscnt 0x0
	v_lshrrev_b32_e32 v5, 16, v2
	s_wait_loadcnt 0x0
	v_lshrrev_b32_e32 v6, 16, v4
	s_delay_alu instid0(VALU_DEP_1) | instskip(SKIP_1) | instid1(VALU_DEP_2)
	v_mul_f16_e32 v7, v5, v6
	v_mul_f16_e32 v6, v2, v6
	v_fmac_f16_e32 v7, v2, v4
	s_delay_alu instid0(VALU_DEP_2) | instskip(NEXT) | instid1(VALU_DEP_2)
	v_fma_f16 v2, v4, v5, -v6
	v_cvt_f32_f16_e32 v4, v7
	s_delay_alu instid0(VALU_DEP_2) | instskip(NEXT) | instid1(VALU_DEP_2)
	v_cvt_f32_f16_e32 v2, v2
	v_cvt_f64_f32_e32 v[4:5], v4
	s_delay_alu instid0(VALU_DEP_2) | instskip(NEXT) | instid1(VALU_DEP_2)
	v_cvt_f64_f32_e32 v[6:7], v2
	v_mul_f64_e32 v[4:5], s[10:11], v[4:5]
	s_delay_alu instid0(VALU_DEP_2) | instskip(NEXT) | instid1(VALU_DEP_2)
	v_mul_f64_e32 v[6:7], s[10:11], v[6:7]
	v_and_or_b32 v2, 0x1ff, v5, v4
	s_delay_alu instid0(VALU_DEP_2)
	v_and_or_b32 v6, 0x1ff, v7, v6
	v_lshrrev_b32_e32 v4, 8, v5
	v_bfe_u32 v8, v5, 20, 11
	v_lshrrev_b32_e32 v9, 8, v7
	v_cmp_ne_u32_e32 vcc_lo, 0, v2
	v_bfe_u32 v10, v7, 20, 11
	v_lshrrev_b32_e32 v5, 16, v5
	v_sub_nc_u32_e32 v11, 0x3f1, v8
	v_add_nc_u32_e32 v8, 0xfffffc10, v8
	s_wait_alu 0xfffd
	v_cndmask_b32_e64 v2, 0, 1, vcc_lo
	v_cmp_ne_u32_e32 vcc_lo, 0, v6
	v_lshrrev_b32_e32 v7, 16, v7
	s_delay_alu instid0(VALU_DEP_3) | instskip(SKIP_4) | instid1(VALU_DEP_3)
	v_and_or_b32 v2, 0xffe, v4, v2
	s_wait_alu 0xfffd
	v_cndmask_b32_e64 v6, 0, 1, vcc_lo
	v_sub_nc_u32_e32 v4, 0x3f1, v10
	v_add_nc_u32_e32 v10, 0xfffffc10, v10
	v_and_or_b32 v6, 0xffe, v9, v6
	v_med3_i32 v9, v11, 0, 13
	v_or_b32_e32 v11, 0x1000, v2
	v_med3_i32 v4, v4, 0, 13
	s_delay_alu instid0(VALU_DEP_4) | instskip(NEXT) | instid1(VALU_DEP_3)
	v_or_b32_e32 v12, 0x1000, v6
	v_lshrrev_b32_e32 v13, v9, v11
	s_delay_alu instid0(VALU_DEP_2) | instskip(NEXT) | instid1(VALU_DEP_2)
	v_lshrrev_b32_e32 v14, v4, v12
	v_lshlrev_b32_e32 v9, v9, v13
	s_delay_alu instid0(VALU_DEP_2) | instskip(NEXT) | instid1(VALU_DEP_2)
	v_lshlrev_b32_e32 v4, v4, v14
	v_cmp_ne_u32_e32 vcc_lo, v9, v11
	v_lshl_or_b32 v11, v8, 12, v2
	s_wait_alu 0xfffd
	v_cndmask_b32_e64 v9, 0, 1, vcc_lo
	v_cmp_ne_u32_e32 vcc_lo, v4, v12
	v_lshl_or_b32 v12, v10, 12, v6
	s_delay_alu instid0(VALU_DEP_3) | instskip(SKIP_3) | instid1(VALU_DEP_2)
	v_or_b32_e32 v9, v13, v9
	s_wait_alu 0xfffd
	v_cndmask_b32_e64 v4, 0, 1, vcc_lo
	v_cmp_gt_i32_e32 vcc_lo, 1, v8
	v_or_b32_e32 v4, v14, v4
	s_wait_alu 0xfffd
	v_cndmask_b32_e32 v9, v11, v9, vcc_lo
	v_cmp_gt_i32_e32 vcc_lo, 1, v10
	s_wait_alu 0xfffd
	s_delay_alu instid0(VALU_DEP_2) | instskip(SKIP_2) | instid1(VALU_DEP_3)
	v_dual_cndmask_b32 v4, v12, v4 :: v_dual_and_b32 v11, 7, v9
	v_cmp_ne_u32_e32 vcc_lo, 0, v2
	v_lshrrev_b32_e32 v9, 2, v9
	v_cmp_eq_u32_e64 s0, 3, v11
	s_delay_alu instid0(VALU_DEP_4)
	v_and_b32_e32 v12, 7, v4
	s_wait_alu 0xfffd
	v_cndmask_b32_e64 v2, 0, 1, vcc_lo
	v_cmp_ne_u32_e32 vcc_lo, 0, v6
	v_lshrrev_b32_e32 v4, 2, v4
	v_cmp_lt_i32_e64 s1, 5, v12
	v_cmp_eq_u32_e64 s2, 3, v12
	s_wait_alu 0xfffd
	v_cndmask_b32_e64 v6, 0, 1, vcc_lo
	v_cmp_lt_i32_e32 vcc_lo, 5, v11
	v_lshl_or_b32 v2, v2, 9, 0x7c00
	s_delay_alu instid0(VALU_DEP_3)
	v_lshl_or_b32 v6, v6, 9, 0x7c00
	s_or_b32 vcc_lo, s0, vcc_lo
	s_wait_alu 0xfffe
	v_add_co_ci_u32_e32 v9, vcc_lo, 0, v9, vcc_lo
	s_or_b32 vcc_lo, s2, s1
	s_wait_alu 0xfffe
	v_add_co_ci_u32_e32 v4, vcc_lo, 0, v4, vcc_lo
	v_cmp_gt_i32_e32 vcc_lo, 31, v8
	s_wait_alu 0xfffd
	v_cndmask_b32_e32 v9, 0x7c00, v9, vcc_lo
	v_cmp_gt_i32_e32 vcc_lo, 31, v10
	s_wait_alu 0xfffd
	v_cndmask_b32_e32 v4, 0x7c00, v4, vcc_lo
	v_cmp_eq_u32_e32 vcc_lo, 0x40f, v8
	s_wait_alu 0xfffd
	v_cndmask_b32_e32 v2, v9, v2, vcc_lo
	v_cmp_eq_u32_e32 vcc_lo, 0x40f, v10
	s_delay_alu instid0(VALU_DEP_2)
	v_and_or_b32 v2, 0x8000, v5, v2
	s_wait_alu 0xfffd
	v_cndmask_b32_e32 v4, v4, v6, vcc_lo
	v_add_co_u32 v0, vcc_lo, v0, s4
	s_wait_alu 0xfffd
	v_add_co_ci_u32_e32 v1, vcc_lo, s5, v1, vcc_lo
	s_delay_alu instid0(VALU_DEP_3) | instskip(SKIP_1) | instid1(VALU_DEP_1)
	v_and_or_b32 v4, 0x8000, v7, v4
	v_and_b32_e32 v2, 0xffff, v2
	v_lshl_or_b32 v2, v4, 16, v2
	v_lshrrev_b32_e32 v4, 16, v3
	global_store_b32 v[0:1], v2, off
	global_load_b32 v2, v51, s[8:9] offset:600
	s_wait_loadcnt 0x0
	v_lshrrev_b32_e32 v5, 16, v2
	s_delay_alu instid0(VALU_DEP_1) | instskip(SKIP_1) | instid1(VALU_DEP_2)
	v_mul_f16_e32 v6, v4, v5
	v_mul_f16_e32 v5, v3, v5
	v_fmac_f16_e32 v6, v3, v2
	s_delay_alu instid0(VALU_DEP_2) | instskip(NEXT) | instid1(VALU_DEP_2)
	v_fma_f16 v2, v2, v4, -v5
	v_cvt_f32_f16_e32 v3, v6
	s_delay_alu instid0(VALU_DEP_2) | instskip(NEXT) | instid1(VALU_DEP_2)
	v_cvt_f32_f16_e32 v4, v2
	v_cvt_f64_f32_e32 v[2:3], v3
	s_delay_alu instid0(VALU_DEP_2) | instskip(NEXT) | instid1(VALU_DEP_2)
	v_cvt_f64_f32_e32 v[4:5], v4
	v_mul_f64_e32 v[2:3], s[10:11], v[2:3]
	s_delay_alu instid0(VALU_DEP_2) | instskip(NEXT) | instid1(VALU_DEP_2)
	v_mul_f64_e32 v[4:5], s[10:11], v[4:5]
	v_and_or_b32 v2, 0x1ff, v3, v2
	s_delay_alu instid0(VALU_DEP_2)
	v_and_or_b32 v4, 0x1ff, v5, v4
	v_lshrrev_b32_e32 v6, 8, v3
	v_bfe_u32 v7, v3, 20, 11
	v_lshrrev_b32_e32 v8, 8, v5
	v_cmp_ne_u32_e32 vcc_lo, 0, v2
	v_bfe_u32 v9, v5, 20, 11
	v_lshrrev_b32_e32 v3, 16, v3
	v_sub_nc_u32_e32 v10, 0x3f1, v7
	v_add_nc_u32_e32 v7, 0xfffffc10, v7
	s_wait_alu 0xfffd
	v_cndmask_b32_e64 v2, 0, 1, vcc_lo
	v_cmp_ne_u32_e32 vcc_lo, 0, v4
	v_lshrrev_b32_e32 v5, 16, v5
	s_delay_alu instid0(VALU_DEP_3) | instskip(SKIP_4) | instid1(VALU_DEP_3)
	v_and_or_b32 v2, 0xffe, v6, v2
	s_wait_alu 0xfffd
	v_cndmask_b32_e64 v4, 0, 1, vcc_lo
	v_sub_nc_u32_e32 v6, 0x3f1, v9
	v_add_nc_u32_e32 v9, 0xfffffc10, v9
	v_and_or_b32 v4, 0xffe, v8, v4
	v_med3_i32 v8, v10, 0, 13
	v_or_b32_e32 v10, 0x1000, v2
	v_med3_i32 v6, v6, 0, 13
	s_delay_alu instid0(VALU_DEP_4) | instskip(NEXT) | instid1(VALU_DEP_3)
	v_or_b32_e32 v11, 0x1000, v4
	v_lshrrev_b32_e32 v12, v8, v10
	s_delay_alu instid0(VALU_DEP_2) | instskip(NEXT) | instid1(VALU_DEP_2)
	v_lshrrev_b32_e32 v13, v6, v11
	v_lshlrev_b32_e32 v8, v8, v12
	s_delay_alu instid0(VALU_DEP_2) | instskip(NEXT) | instid1(VALU_DEP_2)
	v_lshlrev_b32_e32 v6, v6, v13
	v_cmp_ne_u32_e32 vcc_lo, v8, v10
	v_lshl_or_b32 v10, v7, 12, v2
	s_wait_alu 0xfffd
	v_cndmask_b32_e64 v8, 0, 1, vcc_lo
	v_cmp_ne_u32_e32 vcc_lo, v6, v11
	v_lshl_or_b32 v11, v9, 12, v4
	s_delay_alu instid0(VALU_DEP_3) | instskip(SKIP_3) | instid1(VALU_DEP_2)
	v_or_b32_e32 v8, v12, v8
	s_wait_alu 0xfffd
	v_cndmask_b32_e64 v6, 0, 1, vcc_lo
	v_cmp_gt_i32_e32 vcc_lo, 1, v7
	v_or_b32_e32 v6, v13, v6
	s_wait_alu 0xfffd
	v_cndmask_b32_e32 v8, v10, v8, vcc_lo
	v_cmp_gt_i32_e32 vcc_lo, 1, v9
	s_delay_alu instid0(VALU_DEP_2)
	v_and_b32_e32 v10, 7, v8
	s_wait_alu 0xfffd
	v_cndmask_b32_e32 v6, v11, v6, vcc_lo
	v_cmp_ne_u32_e32 vcc_lo, 0, v2
	v_lshrrev_b32_e32 v8, 2, v8
	v_cmp_eq_u32_e64 s0, 3, v10
	s_delay_alu instid0(VALU_DEP_4)
	v_and_b32_e32 v11, 7, v6
	s_wait_alu 0xfffd
	v_cndmask_b32_e64 v2, 0, 1, vcc_lo
	v_cmp_ne_u32_e32 vcc_lo, 0, v4
	v_lshrrev_b32_e32 v6, 2, v6
	v_cmp_lt_i32_e64 s1, 5, v11
	v_cmp_eq_u32_e64 s2, 3, v11
	s_wait_alu 0xfffd
	v_cndmask_b32_e64 v4, 0, 1, vcc_lo
	v_cmp_lt_i32_e32 vcc_lo, 5, v10
	v_lshl_or_b32 v2, v2, 9, 0x7c00
	s_delay_alu instid0(VALU_DEP_3)
	v_lshl_or_b32 v4, v4, 9, 0x7c00
	s_or_b32 vcc_lo, s0, vcc_lo
	s_wait_alu 0xfffe
	v_add_co_ci_u32_e32 v8, vcc_lo, 0, v8, vcc_lo
	s_or_b32 vcc_lo, s2, s1
	s_wait_alu 0xfffe
	v_add_co_ci_u32_e32 v6, vcc_lo, 0, v6, vcc_lo
	v_cmp_gt_i32_e32 vcc_lo, 31, v7
	s_wait_alu 0xfffd
	v_cndmask_b32_e32 v8, 0x7c00, v8, vcc_lo
	v_cmp_gt_i32_e32 vcc_lo, 31, v9
	s_wait_alu 0xfffd
	v_cndmask_b32_e32 v6, 0x7c00, v6, vcc_lo
	v_cmp_eq_u32_e32 vcc_lo, 0x40f, v7
	s_wait_alu 0xfffd
	v_cndmask_b32_e32 v2, v8, v2, vcc_lo
	v_cmp_eq_u32_e32 vcc_lo, 0x40f, v9
	s_delay_alu instid0(VALU_DEP_2)
	v_and_or_b32 v2, 0x8000, v3, v2
	s_wait_alu 0xfffd
	v_cndmask_b32_e32 v4, v6, v4, vcc_lo
	v_add_co_u32 v0, vcc_lo, v0, s4
	s_wait_alu 0xfffd
	v_add_co_ci_u32_e32 v1, vcc_lo, s5, v1, vcc_lo
	s_delay_alu instid0(VALU_DEP_3) | instskip(SKIP_1) | instid1(VALU_DEP_1)
	v_and_or_b32 v3, 0x8000, v5, v4
	v_and_b32_e32 v2, 0xffff, v2
	v_lshl_or_b32 v2, v3, 16, v2
	global_store_b32 v[0:1], v2, off
	global_load_b32 v4, v51, s[8:9] offset:900
	v_add_nc_u32_e32 v2, 0x200, v53
	ds_load_2addr_b32 v[2:3], v2 offset0:97 offset1:172
	s_wait_dscnt 0x0
	v_lshrrev_b32_e32 v5, 16, v2
	s_wait_loadcnt 0x0
	v_lshrrev_b32_e32 v6, 16, v4
	s_delay_alu instid0(VALU_DEP_1) | instskip(SKIP_1) | instid1(VALU_DEP_2)
	v_mul_f16_e32 v7, v5, v6
	v_mul_f16_e32 v6, v2, v6
	v_fmac_f16_e32 v7, v2, v4
	s_delay_alu instid0(VALU_DEP_2) | instskip(NEXT) | instid1(VALU_DEP_2)
	v_fma_f16 v2, v4, v5, -v6
	v_cvt_f32_f16_e32 v4, v7
	s_delay_alu instid0(VALU_DEP_2) | instskip(NEXT) | instid1(VALU_DEP_2)
	v_cvt_f32_f16_e32 v2, v2
	v_cvt_f64_f32_e32 v[4:5], v4
	s_delay_alu instid0(VALU_DEP_2) | instskip(NEXT) | instid1(VALU_DEP_2)
	v_cvt_f64_f32_e32 v[6:7], v2
	v_mul_f64_e32 v[4:5], s[10:11], v[4:5]
	s_delay_alu instid0(VALU_DEP_2) | instskip(NEXT) | instid1(VALU_DEP_2)
	v_mul_f64_e32 v[6:7], s[10:11], v[6:7]
	v_and_or_b32 v2, 0x1ff, v5, v4
	s_delay_alu instid0(VALU_DEP_2)
	v_and_or_b32 v6, 0x1ff, v7, v6
	v_lshrrev_b32_e32 v4, 8, v5
	v_bfe_u32 v8, v5, 20, 11
	v_lshrrev_b32_e32 v9, 8, v7
	v_cmp_ne_u32_e32 vcc_lo, 0, v2
	v_bfe_u32 v10, v7, 20, 11
	v_lshrrev_b32_e32 v5, 16, v5
	v_sub_nc_u32_e32 v11, 0x3f1, v8
	v_add_nc_u32_e32 v8, 0xfffffc10, v8
	s_wait_alu 0xfffd
	v_cndmask_b32_e64 v2, 0, 1, vcc_lo
	v_cmp_ne_u32_e32 vcc_lo, 0, v6
	v_lshrrev_b32_e32 v7, 16, v7
	s_delay_alu instid0(VALU_DEP_3) | instskip(SKIP_4) | instid1(VALU_DEP_3)
	v_and_or_b32 v2, 0xffe, v4, v2
	s_wait_alu 0xfffd
	v_cndmask_b32_e64 v6, 0, 1, vcc_lo
	v_sub_nc_u32_e32 v4, 0x3f1, v10
	v_add_nc_u32_e32 v10, 0xfffffc10, v10
	v_and_or_b32 v6, 0xffe, v9, v6
	v_med3_i32 v9, v11, 0, 13
	v_or_b32_e32 v11, 0x1000, v2
	v_med3_i32 v4, v4, 0, 13
	s_delay_alu instid0(VALU_DEP_4) | instskip(NEXT) | instid1(VALU_DEP_3)
	v_or_b32_e32 v12, 0x1000, v6
	v_lshrrev_b32_e32 v13, v9, v11
	s_delay_alu instid0(VALU_DEP_2) | instskip(NEXT) | instid1(VALU_DEP_2)
	v_lshrrev_b32_e32 v14, v4, v12
	v_lshlrev_b32_e32 v9, v9, v13
	s_delay_alu instid0(VALU_DEP_2) | instskip(NEXT) | instid1(VALU_DEP_2)
	v_lshlrev_b32_e32 v4, v4, v14
	v_cmp_ne_u32_e32 vcc_lo, v9, v11
	v_lshl_or_b32 v11, v8, 12, v2
	s_wait_alu 0xfffd
	v_cndmask_b32_e64 v9, 0, 1, vcc_lo
	v_cmp_ne_u32_e32 vcc_lo, v4, v12
	v_lshl_or_b32 v12, v10, 12, v6
	s_delay_alu instid0(VALU_DEP_3) | instskip(SKIP_3) | instid1(VALU_DEP_2)
	v_or_b32_e32 v9, v13, v9
	s_wait_alu 0xfffd
	v_cndmask_b32_e64 v4, 0, 1, vcc_lo
	v_cmp_gt_i32_e32 vcc_lo, 1, v8
	v_or_b32_e32 v4, v14, v4
	s_wait_alu 0xfffd
	v_cndmask_b32_e32 v9, v11, v9, vcc_lo
	v_cmp_gt_i32_e32 vcc_lo, 1, v10
	s_wait_alu 0xfffd
	s_delay_alu instid0(VALU_DEP_2) | instskip(SKIP_2) | instid1(VALU_DEP_3)
	v_dual_cndmask_b32 v4, v12, v4 :: v_dual_and_b32 v11, 7, v9
	v_cmp_ne_u32_e32 vcc_lo, 0, v2
	v_lshrrev_b32_e32 v9, 2, v9
	v_cmp_eq_u32_e64 s0, 3, v11
	s_delay_alu instid0(VALU_DEP_4)
	v_and_b32_e32 v12, 7, v4
	s_wait_alu 0xfffd
	v_cndmask_b32_e64 v2, 0, 1, vcc_lo
	v_cmp_ne_u32_e32 vcc_lo, 0, v6
	v_lshrrev_b32_e32 v4, 2, v4
	v_cmp_lt_i32_e64 s1, 5, v12
	v_cmp_eq_u32_e64 s2, 3, v12
	s_wait_alu 0xfffd
	v_cndmask_b32_e64 v6, 0, 1, vcc_lo
	v_cmp_lt_i32_e32 vcc_lo, 5, v11
	v_lshl_or_b32 v2, v2, 9, 0x7c00
	s_delay_alu instid0(VALU_DEP_3)
	v_lshl_or_b32 v6, v6, 9, 0x7c00
	s_or_b32 vcc_lo, s0, vcc_lo
	s_wait_alu 0xfffe
	v_add_co_ci_u32_e32 v9, vcc_lo, 0, v9, vcc_lo
	s_or_b32 vcc_lo, s2, s1
	s_wait_alu 0xfffe
	v_add_co_ci_u32_e32 v4, vcc_lo, 0, v4, vcc_lo
	v_cmp_gt_i32_e32 vcc_lo, 31, v8
	s_wait_alu 0xfffd
	v_cndmask_b32_e32 v9, 0x7c00, v9, vcc_lo
	v_cmp_gt_i32_e32 vcc_lo, 31, v10
	s_wait_alu 0xfffd
	v_cndmask_b32_e32 v4, 0x7c00, v4, vcc_lo
	v_cmp_eq_u32_e32 vcc_lo, 0x40f, v8
	s_wait_alu 0xfffd
	v_cndmask_b32_e32 v2, v9, v2, vcc_lo
	v_cmp_eq_u32_e32 vcc_lo, 0x40f, v10
	s_delay_alu instid0(VALU_DEP_2)
	v_and_or_b32 v2, 0x8000, v5, v2
	s_wait_alu 0xfffd
	v_cndmask_b32_e32 v4, v4, v6, vcc_lo
	v_add_co_u32 v0, vcc_lo, v0, s4
	s_wait_alu 0xfffd
	v_add_co_ci_u32_e32 v1, vcc_lo, s5, v1, vcc_lo
	s_delay_alu instid0(VALU_DEP_3) | instskip(SKIP_1) | instid1(VALU_DEP_1)
	v_and_or_b32 v4, 0x8000, v7, v4
	v_and_b32_e32 v2, 0xffff, v2
	v_lshl_or_b32 v2, v4, 16, v2
	v_lshrrev_b32_e32 v4, 16, v3
	global_store_b32 v[0:1], v2, off
	global_load_b32 v2, v51, s[8:9] offset:1200
	s_wait_loadcnt 0x0
	v_lshrrev_b32_e32 v5, 16, v2
	s_delay_alu instid0(VALU_DEP_1) | instskip(SKIP_1) | instid1(VALU_DEP_2)
	v_mul_f16_e32 v6, v4, v5
	v_mul_f16_e32 v5, v3, v5
	v_fmac_f16_e32 v6, v3, v2
	s_delay_alu instid0(VALU_DEP_2) | instskip(NEXT) | instid1(VALU_DEP_2)
	v_fma_f16 v2, v2, v4, -v5
	v_cvt_f32_f16_e32 v3, v6
	s_delay_alu instid0(VALU_DEP_2) | instskip(NEXT) | instid1(VALU_DEP_2)
	v_cvt_f32_f16_e32 v4, v2
	v_cvt_f64_f32_e32 v[2:3], v3
	s_delay_alu instid0(VALU_DEP_2) | instskip(NEXT) | instid1(VALU_DEP_2)
	v_cvt_f64_f32_e32 v[4:5], v4
	v_mul_f64_e32 v[2:3], s[10:11], v[2:3]
	s_delay_alu instid0(VALU_DEP_2) | instskip(NEXT) | instid1(VALU_DEP_2)
	v_mul_f64_e32 v[4:5], s[10:11], v[4:5]
	v_and_or_b32 v2, 0x1ff, v3, v2
	s_delay_alu instid0(VALU_DEP_2)
	v_and_or_b32 v4, 0x1ff, v5, v4
	v_lshrrev_b32_e32 v6, 8, v3
	v_bfe_u32 v7, v3, 20, 11
	v_lshrrev_b32_e32 v8, 8, v5
	v_cmp_ne_u32_e32 vcc_lo, 0, v2
	v_bfe_u32 v9, v5, 20, 11
	v_lshrrev_b32_e32 v3, 16, v3
	v_sub_nc_u32_e32 v10, 0x3f1, v7
	v_add_nc_u32_e32 v7, 0xfffffc10, v7
	s_wait_alu 0xfffd
	v_cndmask_b32_e64 v2, 0, 1, vcc_lo
	v_cmp_ne_u32_e32 vcc_lo, 0, v4
	v_lshrrev_b32_e32 v5, 16, v5
	s_delay_alu instid0(VALU_DEP_3) | instskip(SKIP_4) | instid1(VALU_DEP_3)
	v_and_or_b32 v2, 0xffe, v6, v2
	s_wait_alu 0xfffd
	v_cndmask_b32_e64 v4, 0, 1, vcc_lo
	v_sub_nc_u32_e32 v6, 0x3f1, v9
	v_add_nc_u32_e32 v9, 0xfffffc10, v9
	v_and_or_b32 v4, 0xffe, v8, v4
	v_med3_i32 v8, v10, 0, 13
	v_or_b32_e32 v10, 0x1000, v2
	v_med3_i32 v6, v6, 0, 13
	s_delay_alu instid0(VALU_DEP_4) | instskip(NEXT) | instid1(VALU_DEP_3)
	v_or_b32_e32 v11, 0x1000, v4
	v_lshrrev_b32_e32 v12, v8, v10
	s_delay_alu instid0(VALU_DEP_2) | instskip(NEXT) | instid1(VALU_DEP_2)
	v_lshrrev_b32_e32 v13, v6, v11
	v_lshlrev_b32_e32 v8, v8, v12
	s_delay_alu instid0(VALU_DEP_2) | instskip(NEXT) | instid1(VALU_DEP_2)
	v_lshlrev_b32_e32 v6, v6, v13
	v_cmp_ne_u32_e32 vcc_lo, v8, v10
	v_lshl_or_b32 v10, v7, 12, v2
	s_wait_alu 0xfffd
	v_cndmask_b32_e64 v8, 0, 1, vcc_lo
	v_cmp_ne_u32_e32 vcc_lo, v6, v11
	v_lshl_or_b32 v11, v9, 12, v4
	s_delay_alu instid0(VALU_DEP_3) | instskip(SKIP_3) | instid1(VALU_DEP_2)
	v_or_b32_e32 v8, v12, v8
	s_wait_alu 0xfffd
	v_cndmask_b32_e64 v6, 0, 1, vcc_lo
	v_cmp_gt_i32_e32 vcc_lo, 1, v7
	v_or_b32_e32 v6, v13, v6
	s_wait_alu 0xfffd
	v_cndmask_b32_e32 v8, v10, v8, vcc_lo
	v_cmp_gt_i32_e32 vcc_lo, 1, v9
	s_delay_alu instid0(VALU_DEP_2)
	v_and_b32_e32 v10, 7, v8
	s_wait_alu 0xfffd
	v_cndmask_b32_e32 v6, v11, v6, vcc_lo
	v_cmp_ne_u32_e32 vcc_lo, 0, v2
	v_lshrrev_b32_e32 v8, 2, v8
	v_cmp_eq_u32_e64 s0, 3, v10
	s_delay_alu instid0(VALU_DEP_4)
	v_and_b32_e32 v11, 7, v6
	s_wait_alu 0xfffd
	v_cndmask_b32_e64 v2, 0, 1, vcc_lo
	v_cmp_ne_u32_e32 vcc_lo, 0, v4
	v_lshrrev_b32_e32 v6, 2, v6
	v_cmp_lt_i32_e64 s1, 5, v11
	v_cmp_eq_u32_e64 s2, 3, v11
	s_wait_alu 0xfffd
	v_cndmask_b32_e64 v4, 0, 1, vcc_lo
	v_cmp_lt_i32_e32 vcc_lo, 5, v10
	v_lshl_or_b32 v2, v2, 9, 0x7c00
	s_delay_alu instid0(VALU_DEP_3)
	v_lshl_or_b32 v4, v4, 9, 0x7c00
	s_or_b32 vcc_lo, s0, vcc_lo
	s_wait_alu 0xfffe
	v_add_co_ci_u32_e32 v8, vcc_lo, 0, v8, vcc_lo
	s_or_b32 vcc_lo, s2, s1
	s_wait_alu 0xfffe
	v_add_co_ci_u32_e32 v6, vcc_lo, 0, v6, vcc_lo
	v_cmp_gt_i32_e32 vcc_lo, 31, v7
	s_wait_alu 0xfffd
	v_cndmask_b32_e32 v8, 0x7c00, v8, vcc_lo
	v_cmp_gt_i32_e32 vcc_lo, 31, v9
	s_wait_alu 0xfffd
	v_cndmask_b32_e32 v6, 0x7c00, v6, vcc_lo
	v_cmp_eq_u32_e32 vcc_lo, 0x40f, v7
	s_wait_alu 0xfffd
	v_cndmask_b32_e32 v2, v8, v2, vcc_lo
	v_cmp_eq_u32_e32 vcc_lo, 0x40f, v9
	s_delay_alu instid0(VALU_DEP_2)
	v_and_or_b32 v2, 0x8000, v3, v2
	s_wait_alu 0xfffd
	v_cndmask_b32_e32 v4, v6, v4, vcc_lo
	v_add_co_u32 v0, vcc_lo, v0, s4
	s_wait_alu 0xfffd
	v_add_co_ci_u32_e32 v1, vcc_lo, s5, v1, vcc_lo
	s_delay_alu instid0(VALU_DEP_3) | instskip(SKIP_1) | instid1(VALU_DEP_1)
	v_and_or_b32 v3, 0x8000, v5, v4
	v_and_b32_e32 v2, 0xffff, v2
	v_lshl_or_b32 v2, v3, 16, v2
	global_store_b32 v[0:1], v2, off
	global_load_b32 v4, v51, s[8:9] offset:1500
	v_add_nc_u32_e32 v2, 0x400, v53
	ds_load_2addr_b32 v[2:3], v2 offset0:119 offset1:194
	s_wait_dscnt 0x0
	v_lshrrev_b32_e32 v5, 16, v2
	s_wait_loadcnt 0x0
	v_lshrrev_b32_e32 v6, 16, v4
	s_delay_alu instid0(VALU_DEP_1) | instskip(SKIP_1) | instid1(VALU_DEP_2)
	v_mul_f16_e32 v7, v5, v6
	v_mul_f16_e32 v6, v2, v6
	v_fmac_f16_e32 v7, v2, v4
	s_delay_alu instid0(VALU_DEP_2) | instskip(NEXT) | instid1(VALU_DEP_2)
	v_fma_f16 v2, v4, v5, -v6
	v_cvt_f32_f16_e32 v4, v7
	s_delay_alu instid0(VALU_DEP_2) | instskip(NEXT) | instid1(VALU_DEP_2)
	v_cvt_f32_f16_e32 v2, v2
	v_cvt_f64_f32_e32 v[4:5], v4
	s_delay_alu instid0(VALU_DEP_2) | instskip(NEXT) | instid1(VALU_DEP_2)
	v_cvt_f64_f32_e32 v[6:7], v2
	v_mul_f64_e32 v[4:5], s[10:11], v[4:5]
	s_delay_alu instid0(VALU_DEP_2) | instskip(NEXT) | instid1(VALU_DEP_2)
	v_mul_f64_e32 v[6:7], s[10:11], v[6:7]
	v_and_or_b32 v2, 0x1ff, v5, v4
	s_delay_alu instid0(VALU_DEP_2)
	v_and_or_b32 v6, 0x1ff, v7, v6
	v_lshrrev_b32_e32 v4, 8, v5
	v_bfe_u32 v8, v5, 20, 11
	v_lshrrev_b32_e32 v9, 8, v7
	v_cmp_ne_u32_e32 vcc_lo, 0, v2
	v_bfe_u32 v10, v7, 20, 11
	v_lshrrev_b32_e32 v5, 16, v5
	v_sub_nc_u32_e32 v11, 0x3f1, v8
	v_add_nc_u32_e32 v8, 0xfffffc10, v8
	s_wait_alu 0xfffd
	v_cndmask_b32_e64 v2, 0, 1, vcc_lo
	v_cmp_ne_u32_e32 vcc_lo, 0, v6
	v_lshrrev_b32_e32 v7, 16, v7
	s_delay_alu instid0(VALU_DEP_3) | instskip(SKIP_4) | instid1(VALU_DEP_3)
	v_and_or_b32 v2, 0xffe, v4, v2
	s_wait_alu 0xfffd
	v_cndmask_b32_e64 v6, 0, 1, vcc_lo
	v_sub_nc_u32_e32 v4, 0x3f1, v10
	v_add_nc_u32_e32 v10, 0xfffffc10, v10
	v_and_or_b32 v6, 0xffe, v9, v6
	v_med3_i32 v9, v11, 0, 13
	v_or_b32_e32 v11, 0x1000, v2
	v_med3_i32 v4, v4, 0, 13
	s_delay_alu instid0(VALU_DEP_4) | instskip(NEXT) | instid1(VALU_DEP_3)
	v_or_b32_e32 v12, 0x1000, v6
	v_lshrrev_b32_e32 v13, v9, v11
	s_delay_alu instid0(VALU_DEP_2) | instskip(NEXT) | instid1(VALU_DEP_2)
	v_lshrrev_b32_e32 v14, v4, v12
	v_lshlrev_b32_e32 v9, v9, v13
	s_delay_alu instid0(VALU_DEP_2) | instskip(NEXT) | instid1(VALU_DEP_2)
	v_lshlrev_b32_e32 v4, v4, v14
	v_cmp_ne_u32_e32 vcc_lo, v9, v11
	v_lshl_or_b32 v11, v8, 12, v2
	s_wait_alu 0xfffd
	v_cndmask_b32_e64 v9, 0, 1, vcc_lo
	v_cmp_ne_u32_e32 vcc_lo, v4, v12
	v_lshl_or_b32 v12, v10, 12, v6
	s_delay_alu instid0(VALU_DEP_3) | instskip(SKIP_3) | instid1(VALU_DEP_2)
	v_or_b32_e32 v9, v13, v9
	s_wait_alu 0xfffd
	v_cndmask_b32_e64 v4, 0, 1, vcc_lo
	v_cmp_gt_i32_e32 vcc_lo, 1, v8
	v_or_b32_e32 v4, v14, v4
	s_wait_alu 0xfffd
	v_cndmask_b32_e32 v9, v11, v9, vcc_lo
	v_cmp_gt_i32_e32 vcc_lo, 1, v10
	s_wait_alu 0xfffd
	s_delay_alu instid0(VALU_DEP_2) | instskip(SKIP_2) | instid1(VALU_DEP_3)
	v_dual_cndmask_b32 v4, v12, v4 :: v_dual_and_b32 v11, 7, v9
	v_cmp_ne_u32_e32 vcc_lo, 0, v2
	v_lshrrev_b32_e32 v9, 2, v9
	v_cmp_eq_u32_e64 s0, 3, v11
	s_delay_alu instid0(VALU_DEP_4)
	v_and_b32_e32 v12, 7, v4
	s_wait_alu 0xfffd
	v_cndmask_b32_e64 v2, 0, 1, vcc_lo
	v_cmp_ne_u32_e32 vcc_lo, 0, v6
	v_lshrrev_b32_e32 v4, 2, v4
	v_cmp_lt_i32_e64 s1, 5, v12
	v_cmp_eq_u32_e64 s2, 3, v12
	s_wait_alu 0xfffd
	v_cndmask_b32_e64 v6, 0, 1, vcc_lo
	v_cmp_lt_i32_e32 vcc_lo, 5, v11
	v_lshl_or_b32 v2, v2, 9, 0x7c00
	s_delay_alu instid0(VALU_DEP_3)
	v_lshl_or_b32 v6, v6, 9, 0x7c00
	s_or_b32 vcc_lo, s0, vcc_lo
	s_wait_alu 0xfffe
	v_add_co_ci_u32_e32 v9, vcc_lo, 0, v9, vcc_lo
	s_or_b32 vcc_lo, s2, s1
	s_wait_alu 0xfffe
	v_add_co_ci_u32_e32 v4, vcc_lo, 0, v4, vcc_lo
	v_cmp_gt_i32_e32 vcc_lo, 31, v8
	s_wait_alu 0xfffd
	v_cndmask_b32_e32 v9, 0x7c00, v9, vcc_lo
	v_cmp_gt_i32_e32 vcc_lo, 31, v10
	s_wait_alu 0xfffd
	v_cndmask_b32_e32 v4, 0x7c00, v4, vcc_lo
	v_cmp_eq_u32_e32 vcc_lo, 0x40f, v8
	s_wait_alu 0xfffd
	v_cndmask_b32_e32 v2, v9, v2, vcc_lo
	v_cmp_eq_u32_e32 vcc_lo, 0x40f, v10
	s_delay_alu instid0(VALU_DEP_2)
	v_and_or_b32 v2, 0x8000, v5, v2
	s_wait_alu 0xfffd
	v_cndmask_b32_e32 v4, v4, v6, vcc_lo
	v_add_co_u32 v0, vcc_lo, v0, s4
	s_wait_alu 0xfffd
	v_add_co_ci_u32_e32 v1, vcc_lo, s5, v1, vcc_lo
	s_delay_alu instid0(VALU_DEP_3) | instskip(SKIP_1) | instid1(VALU_DEP_1)
	v_and_or_b32 v4, 0x8000, v7, v4
	v_and_b32_e32 v2, 0xffff, v2
	v_lshl_or_b32 v2, v4, 16, v2
	v_lshrrev_b32_e32 v4, 16, v3
	global_store_b32 v[0:1], v2, off
	global_load_b32 v2, v51, s[8:9] offset:1800
	s_wait_loadcnt 0x0
	v_lshrrev_b32_e32 v5, 16, v2
	s_delay_alu instid0(VALU_DEP_1) | instskip(SKIP_1) | instid1(VALU_DEP_2)
	v_mul_f16_e32 v6, v4, v5
	v_mul_f16_e32 v5, v3, v5
	v_fmac_f16_e32 v6, v3, v2
	s_delay_alu instid0(VALU_DEP_2) | instskip(NEXT) | instid1(VALU_DEP_2)
	v_fma_f16 v2, v2, v4, -v5
	v_cvt_f32_f16_e32 v3, v6
	s_delay_alu instid0(VALU_DEP_2) | instskip(NEXT) | instid1(VALU_DEP_2)
	v_cvt_f32_f16_e32 v4, v2
	v_cvt_f64_f32_e32 v[2:3], v3
	s_delay_alu instid0(VALU_DEP_2) | instskip(NEXT) | instid1(VALU_DEP_2)
	v_cvt_f64_f32_e32 v[4:5], v4
	v_mul_f64_e32 v[2:3], s[10:11], v[2:3]
	s_delay_alu instid0(VALU_DEP_2) | instskip(NEXT) | instid1(VALU_DEP_2)
	v_mul_f64_e32 v[4:5], s[10:11], v[4:5]
	v_and_or_b32 v2, 0x1ff, v3, v2
	s_delay_alu instid0(VALU_DEP_2)
	v_and_or_b32 v4, 0x1ff, v5, v4
	v_lshrrev_b32_e32 v6, 8, v3
	v_bfe_u32 v7, v3, 20, 11
	v_lshrrev_b32_e32 v8, 8, v5
	v_cmp_ne_u32_e32 vcc_lo, 0, v2
	v_bfe_u32 v9, v5, 20, 11
	v_lshrrev_b32_e32 v3, 16, v3
	v_sub_nc_u32_e32 v10, 0x3f1, v7
	v_add_nc_u32_e32 v7, 0xfffffc10, v7
	s_wait_alu 0xfffd
	v_cndmask_b32_e64 v2, 0, 1, vcc_lo
	v_cmp_ne_u32_e32 vcc_lo, 0, v4
	v_lshrrev_b32_e32 v5, 16, v5
	s_delay_alu instid0(VALU_DEP_3) | instskip(SKIP_4) | instid1(VALU_DEP_3)
	v_and_or_b32 v2, 0xffe, v6, v2
	s_wait_alu 0xfffd
	v_cndmask_b32_e64 v4, 0, 1, vcc_lo
	v_sub_nc_u32_e32 v6, 0x3f1, v9
	v_add_nc_u32_e32 v9, 0xfffffc10, v9
	v_and_or_b32 v4, 0xffe, v8, v4
	v_med3_i32 v8, v10, 0, 13
	v_or_b32_e32 v10, 0x1000, v2
	v_med3_i32 v6, v6, 0, 13
	s_delay_alu instid0(VALU_DEP_4) | instskip(NEXT) | instid1(VALU_DEP_3)
	v_or_b32_e32 v11, 0x1000, v4
	v_lshrrev_b32_e32 v12, v8, v10
	s_delay_alu instid0(VALU_DEP_2) | instskip(NEXT) | instid1(VALU_DEP_2)
	v_lshrrev_b32_e32 v13, v6, v11
	v_lshlrev_b32_e32 v8, v8, v12
	s_delay_alu instid0(VALU_DEP_2) | instskip(NEXT) | instid1(VALU_DEP_2)
	v_lshlrev_b32_e32 v6, v6, v13
	v_cmp_ne_u32_e32 vcc_lo, v8, v10
	v_lshl_or_b32 v10, v7, 12, v2
	s_wait_alu 0xfffd
	v_cndmask_b32_e64 v8, 0, 1, vcc_lo
	v_cmp_ne_u32_e32 vcc_lo, v6, v11
	v_lshl_or_b32 v11, v9, 12, v4
	s_delay_alu instid0(VALU_DEP_3) | instskip(SKIP_3) | instid1(VALU_DEP_2)
	v_or_b32_e32 v8, v12, v8
	s_wait_alu 0xfffd
	v_cndmask_b32_e64 v6, 0, 1, vcc_lo
	v_cmp_gt_i32_e32 vcc_lo, 1, v7
	v_or_b32_e32 v6, v13, v6
	s_wait_alu 0xfffd
	v_cndmask_b32_e32 v8, v10, v8, vcc_lo
	v_cmp_gt_i32_e32 vcc_lo, 1, v9
	s_delay_alu instid0(VALU_DEP_2)
	v_and_b32_e32 v10, 7, v8
	s_wait_alu 0xfffd
	v_cndmask_b32_e32 v6, v11, v6, vcc_lo
	v_cmp_ne_u32_e32 vcc_lo, 0, v2
	v_lshrrev_b32_e32 v8, 2, v8
	v_cmp_eq_u32_e64 s0, 3, v10
	s_delay_alu instid0(VALU_DEP_4)
	v_and_b32_e32 v11, 7, v6
	s_wait_alu 0xfffd
	v_cndmask_b32_e64 v2, 0, 1, vcc_lo
	v_cmp_ne_u32_e32 vcc_lo, 0, v4
	v_lshrrev_b32_e32 v6, 2, v6
	v_cmp_lt_i32_e64 s1, 5, v11
	v_cmp_eq_u32_e64 s2, 3, v11
	s_wait_alu 0xfffd
	v_cndmask_b32_e64 v4, 0, 1, vcc_lo
	v_cmp_lt_i32_e32 vcc_lo, 5, v10
	v_lshl_or_b32 v2, v2, 9, 0x7c00
	s_delay_alu instid0(VALU_DEP_3)
	v_lshl_or_b32 v4, v4, 9, 0x7c00
	s_or_b32 vcc_lo, s0, vcc_lo
	s_wait_alu 0xfffe
	v_add_co_ci_u32_e32 v8, vcc_lo, 0, v8, vcc_lo
	s_or_b32 vcc_lo, s2, s1
	s_wait_alu 0xfffe
	v_add_co_ci_u32_e32 v6, vcc_lo, 0, v6, vcc_lo
	v_cmp_gt_i32_e32 vcc_lo, 31, v7
	s_wait_alu 0xfffd
	v_cndmask_b32_e32 v8, 0x7c00, v8, vcc_lo
	v_cmp_gt_i32_e32 vcc_lo, 31, v9
	s_wait_alu 0xfffd
	v_cndmask_b32_e32 v6, 0x7c00, v6, vcc_lo
	v_cmp_eq_u32_e32 vcc_lo, 0x40f, v7
	s_wait_alu 0xfffd
	v_cndmask_b32_e32 v2, v8, v2, vcc_lo
	v_cmp_eq_u32_e32 vcc_lo, 0x40f, v9
	v_add_nc_u32_e32 v8, 0x800, v53
	s_delay_alu instid0(VALU_DEP_3)
	v_and_or_b32 v2, 0x8000, v3, v2
	s_wait_alu 0xfffd
	v_cndmask_b32_e32 v4, v6, v4, vcc_lo
	v_add_co_u32 v0, vcc_lo, v0, s4
	s_wait_alu 0xfffd
	v_add_co_ci_u32_e32 v1, vcc_lo, s5, v1, vcc_lo
	s_delay_alu instid0(VALU_DEP_3) | instskip(SKIP_1) | instid1(VALU_DEP_1)
	v_and_or_b32 v3, 0x8000, v5, v4
	v_and_b32_e32 v2, 0xffff, v2
	v_lshl_or_b32 v2, v3, 16, v2
	global_store_b32 v[0:1], v2, off
	global_load_b32 v4, v51, s[8:9] offset:2100
	ds_load_2addr_b32 v[2:3], v8 offset0:13 offset1:88
	s_wait_dscnt 0x0
	v_lshrrev_b32_e32 v5, 16, v2
	s_wait_loadcnt 0x0
	v_lshrrev_b32_e32 v6, 16, v4
	s_delay_alu instid0(VALU_DEP_1) | instskip(SKIP_1) | instid1(VALU_DEP_2)
	v_mul_f16_e32 v7, v5, v6
	v_mul_f16_e32 v6, v2, v6
	v_fmac_f16_e32 v7, v2, v4
	s_delay_alu instid0(VALU_DEP_2) | instskip(NEXT) | instid1(VALU_DEP_2)
	v_fma_f16 v2, v4, v5, -v6
	v_cvt_f32_f16_e32 v4, v7
	s_delay_alu instid0(VALU_DEP_2) | instskip(NEXT) | instid1(VALU_DEP_2)
	v_cvt_f32_f16_e32 v2, v2
	v_cvt_f64_f32_e32 v[4:5], v4
	s_delay_alu instid0(VALU_DEP_2) | instskip(NEXT) | instid1(VALU_DEP_2)
	v_cvt_f64_f32_e32 v[6:7], v2
	v_mul_f64_e32 v[4:5], s[10:11], v[4:5]
	s_delay_alu instid0(VALU_DEP_2) | instskip(NEXT) | instid1(VALU_DEP_2)
	v_mul_f64_e32 v[6:7], s[10:11], v[6:7]
	v_and_or_b32 v2, 0x1ff, v5, v4
	s_delay_alu instid0(VALU_DEP_2)
	v_and_or_b32 v6, 0x1ff, v7, v6
	v_lshrrev_b32_e32 v4, 8, v5
	v_bfe_u32 v9, v5, 20, 11
	v_lshrrev_b32_e32 v10, 8, v7
	v_cmp_ne_u32_e32 vcc_lo, 0, v2
	v_bfe_u32 v11, v7, 20, 11
	v_lshrrev_b32_e32 v5, 16, v5
	v_sub_nc_u32_e32 v12, 0x3f1, v9
	v_add_nc_u32_e32 v9, 0xfffffc10, v9
	s_wait_alu 0xfffd
	v_cndmask_b32_e64 v2, 0, 1, vcc_lo
	v_cmp_ne_u32_e32 vcc_lo, 0, v6
	v_lshrrev_b32_e32 v7, 16, v7
	s_delay_alu instid0(VALU_DEP_3) | instskip(SKIP_4) | instid1(VALU_DEP_3)
	v_and_or_b32 v2, 0xffe, v4, v2
	s_wait_alu 0xfffd
	v_cndmask_b32_e64 v6, 0, 1, vcc_lo
	v_sub_nc_u32_e32 v4, 0x3f1, v11
	v_add_nc_u32_e32 v11, 0xfffffc10, v11
	v_and_or_b32 v6, 0xffe, v10, v6
	v_med3_i32 v10, v12, 0, 13
	v_or_b32_e32 v12, 0x1000, v2
	v_med3_i32 v4, v4, 0, 13
	s_delay_alu instid0(VALU_DEP_4) | instskip(NEXT) | instid1(VALU_DEP_3)
	v_or_b32_e32 v13, 0x1000, v6
	v_lshrrev_b32_e32 v14, v10, v12
	s_delay_alu instid0(VALU_DEP_2) | instskip(NEXT) | instid1(VALU_DEP_2)
	v_lshrrev_b32_e32 v15, v4, v13
	v_lshlrev_b32_e32 v10, v10, v14
	s_delay_alu instid0(VALU_DEP_2) | instskip(NEXT) | instid1(VALU_DEP_2)
	v_lshlrev_b32_e32 v4, v4, v15
	v_cmp_ne_u32_e32 vcc_lo, v10, v12
	v_lshl_or_b32 v12, v9, 12, v2
	s_wait_alu 0xfffd
	v_cndmask_b32_e64 v10, 0, 1, vcc_lo
	v_cmp_ne_u32_e32 vcc_lo, v4, v13
	v_lshl_or_b32 v13, v11, 12, v6
	s_delay_alu instid0(VALU_DEP_3) | instskip(SKIP_3) | instid1(VALU_DEP_2)
	v_or_b32_e32 v10, v14, v10
	s_wait_alu 0xfffd
	v_cndmask_b32_e64 v4, 0, 1, vcc_lo
	v_cmp_gt_i32_e32 vcc_lo, 1, v9
	v_or_b32_e32 v4, v15, v4
	s_wait_alu 0xfffd
	v_cndmask_b32_e32 v10, v12, v10, vcc_lo
	v_cmp_gt_i32_e32 vcc_lo, 1, v11
	s_delay_alu instid0(VALU_DEP_2)
	v_and_b32_e32 v12, 7, v10
	s_wait_alu 0xfffd
	v_cndmask_b32_e32 v4, v13, v4, vcc_lo
	v_cmp_ne_u32_e32 vcc_lo, 0, v2
	v_lshrrev_b32_e32 v10, 2, v10
	v_cmp_eq_u32_e64 s0, 3, v12
	s_delay_alu instid0(VALU_DEP_4)
	v_and_b32_e32 v13, 7, v4
	s_wait_alu 0xfffd
	v_cndmask_b32_e64 v2, 0, 1, vcc_lo
	v_cmp_ne_u32_e32 vcc_lo, 0, v6
	v_lshrrev_b32_e32 v4, 2, v4
	v_cmp_lt_i32_e64 s1, 5, v13
	v_cmp_eq_u32_e64 s2, 3, v13
	s_wait_alu 0xfffd
	v_cndmask_b32_e64 v6, 0, 1, vcc_lo
	v_cmp_lt_i32_e32 vcc_lo, 5, v12
	v_lshl_or_b32 v2, v2, 9, 0x7c00
	s_delay_alu instid0(VALU_DEP_3)
	v_lshl_or_b32 v6, v6, 9, 0x7c00
	s_or_b32 vcc_lo, s0, vcc_lo
	s_wait_alu 0xfffe
	v_add_co_ci_u32_e32 v10, vcc_lo, 0, v10, vcc_lo
	s_or_b32 vcc_lo, s2, s1
	s_wait_alu 0xfffe
	v_add_co_ci_u32_e32 v4, vcc_lo, 0, v4, vcc_lo
	v_cmp_gt_i32_e32 vcc_lo, 31, v9
	s_wait_alu 0xfffd
	v_cndmask_b32_e32 v10, 0x7c00, v10, vcc_lo
	v_cmp_gt_i32_e32 vcc_lo, 31, v11
	s_wait_alu 0xfffd
	v_cndmask_b32_e32 v4, 0x7c00, v4, vcc_lo
	v_cmp_eq_u32_e32 vcc_lo, 0x40f, v9
	s_wait_alu 0xfffd
	v_cndmask_b32_e32 v2, v10, v2, vcc_lo
	v_cmp_eq_u32_e32 vcc_lo, 0x40f, v11
	s_delay_alu instid0(VALU_DEP_2)
	v_and_or_b32 v2, 0x8000, v5, v2
	s_wait_alu 0xfffd
	v_cndmask_b32_e32 v4, v4, v6, vcc_lo
	v_add_co_u32 v0, vcc_lo, v0, s4
	s_wait_alu 0xfffd
	v_add_co_ci_u32_e32 v1, vcc_lo, s5, v1, vcc_lo
	s_delay_alu instid0(VALU_DEP_3) | instskip(SKIP_1) | instid1(VALU_DEP_1)
	v_and_or_b32 v4, 0x8000, v7, v4
	v_and_b32_e32 v2, 0xffff, v2
	v_lshl_or_b32 v2, v4, 16, v2
	v_lshrrev_b32_e32 v4, 16, v3
	global_store_b32 v[0:1], v2, off
	global_load_b32 v2, v51, s[8:9] offset:2400
	s_wait_loadcnt 0x0
	v_lshrrev_b32_e32 v5, 16, v2
	s_delay_alu instid0(VALU_DEP_1) | instskip(SKIP_1) | instid1(VALU_DEP_2)
	v_mul_f16_e32 v6, v4, v5
	v_mul_f16_e32 v5, v3, v5
	v_fmac_f16_e32 v6, v3, v2
	s_delay_alu instid0(VALU_DEP_2) | instskip(NEXT) | instid1(VALU_DEP_2)
	v_fma_f16 v2, v2, v4, -v5
	v_cvt_f32_f16_e32 v3, v6
	s_delay_alu instid0(VALU_DEP_2) | instskip(NEXT) | instid1(VALU_DEP_2)
	v_cvt_f32_f16_e32 v4, v2
	v_cvt_f64_f32_e32 v[2:3], v3
	s_delay_alu instid0(VALU_DEP_2) | instskip(NEXT) | instid1(VALU_DEP_2)
	v_cvt_f64_f32_e32 v[4:5], v4
	v_mul_f64_e32 v[2:3], s[10:11], v[2:3]
	s_delay_alu instid0(VALU_DEP_2) | instskip(NEXT) | instid1(VALU_DEP_2)
	v_mul_f64_e32 v[4:5], s[10:11], v[4:5]
	v_and_or_b32 v2, 0x1ff, v3, v2
	s_delay_alu instid0(VALU_DEP_2)
	v_and_or_b32 v4, 0x1ff, v5, v4
	v_lshrrev_b32_e32 v6, 8, v3
	v_bfe_u32 v7, v3, 20, 11
	v_lshrrev_b32_e32 v9, 8, v5
	v_cmp_ne_u32_e32 vcc_lo, 0, v2
	v_bfe_u32 v10, v5, 20, 11
	v_lshrrev_b32_e32 v3, 16, v3
	v_sub_nc_u32_e32 v11, 0x3f1, v7
	v_add_nc_u32_e32 v7, 0xfffffc10, v7
	s_wait_alu 0xfffd
	v_cndmask_b32_e64 v2, 0, 1, vcc_lo
	v_cmp_ne_u32_e32 vcc_lo, 0, v4
	v_lshrrev_b32_e32 v5, 16, v5
	s_delay_alu instid0(VALU_DEP_3) | instskip(SKIP_4) | instid1(VALU_DEP_3)
	v_and_or_b32 v2, 0xffe, v6, v2
	s_wait_alu 0xfffd
	v_cndmask_b32_e64 v4, 0, 1, vcc_lo
	v_sub_nc_u32_e32 v6, 0x3f1, v10
	v_add_nc_u32_e32 v10, 0xfffffc10, v10
	v_and_or_b32 v4, 0xffe, v9, v4
	v_med3_i32 v9, v11, 0, 13
	v_or_b32_e32 v11, 0x1000, v2
	v_med3_i32 v6, v6, 0, 13
	s_delay_alu instid0(VALU_DEP_4) | instskip(NEXT) | instid1(VALU_DEP_3)
	v_or_b32_e32 v12, 0x1000, v4
	v_lshrrev_b32_e32 v13, v9, v11
	s_delay_alu instid0(VALU_DEP_2) | instskip(NEXT) | instid1(VALU_DEP_2)
	v_lshrrev_b32_e32 v14, v6, v12
	v_lshlrev_b32_e32 v9, v9, v13
	s_delay_alu instid0(VALU_DEP_2) | instskip(NEXT) | instid1(VALU_DEP_2)
	v_lshlrev_b32_e32 v6, v6, v14
	v_cmp_ne_u32_e32 vcc_lo, v9, v11
	v_lshl_or_b32 v11, v7, 12, v2
	s_wait_alu 0xfffd
	v_cndmask_b32_e64 v9, 0, 1, vcc_lo
	v_cmp_ne_u32_e32 vcc_lo, v6, v12
	v_lshl_or_b32 v12, v10, 12, v4
	s_delay_alu instid0(VALU_DEP_3) | instskip(SKIP_3) | instid1(VALU_DEP_2)
	v_or_b32_e32 v9, v13, v9
	s_wait_alu 0xfffd
	v_cndmask_b32_e64 v6, 0, 1, vcc_lo
	v_cmp_gt_i32_e32 vcc_lo, 1, v7
	v_or_b32_e32 v6, v14, v6
	s_wait_alu 0xfffd
	v_cndmask_b32_e32 v9, v11, v9, vcc_lo
	v_cmp_gt_i32_e32 vcc_lo, 1, v10
	s_wait_alu 0xfffd
	s_delay_alu instid0(VALU_DEP_2) | instskip(SKIP_2) | instid1(VALU_DEP_3)
	v_dual_cndmask_b32 v6, v12, v6 :: v_dual_and_b32 v11, 7, v9
	v_cmp_ne_u32_e32 vcc_lo, 0, v2
	v_lshrrev_b32_e32 v9, 2, v9
	v_cmp_eq_u32_e64 s0, 3, v11
	s_delay_alu instid0(VALU_DEP_4)
	v_and_b32_e32 v12, 7, v6
	s_wait_alu 0xfffd
	v_cndmask_b32_e64 v2, 0, 1, vcc_lo
	v_cmp_ne_u32_e32 vcc_lo, 0, v4
	v_lshrrev_b32_e32 v6, 2, v6
	v_cmp_lt_i32_e64 s1, 5, v12
	v_cmp_eq_u32_e64 s2, 3, v12
	s_wait_alu 0xfffd
	v_cndmask_b32_e64 v4, 0, 1, vcc_lo
	v_cmp_lt_i32_e32 vcc_lo, 5, v11
	v_lshl_or_b32 v2, v2, 9, 0x7c00
	s_delay_alu instid0(VALU_DEP_3)
	v_lshl_or_b32 v4, v4, 9, 0x7c00
	s_or_b32 vcc_lo, s0, vcc_lo
	s_wait_alu 0xfffe
	v_add_co_ci_u32_e32 v9, vcc_lo, 0, v9, vcc_lo
	s_or_b32 vcc_lo, s2, s1
	s_wait_alu 0xfffe
	v_add_co_ci_u32_e32 v6, vcc_lo, 0, v6, vcc_lo
	v_cmp_gt_i32_e32 vcc_lo, 31, v7
	s_wait_alu 0xfffd
	v_cndmask_b32_e32 v9, 0x7c00, v9, vcc_lo
	v_cmp_gt_i32_e32 vcc_lo, 31, v10
	s_wait_alu 0xfffd
	v_cndmask_b32_e32 v6, 0x7c00, v6, vcc_lo
	v_cmp_eq_u32_e32 vcc_lo, 0x40f, v7
	s_wait_alu 0xfffd
	v_cndmask_b32_e32 v2, v9, v2, vcc_lo
	v_cmp_eq_u32_e32 vcc_lo, 0x40f, v10
	s_delay_alu instid0(VALU_DEP_2)
	v_and_or_b32 v2, 0x8000, v3, v2
	s_wait_alu 0xfffd
	v_cndmask_b32_e32 v4, v6, v4, vcc_lo
	v_add_co_u32 v0, vcc_lo, v0, s4
	s_wait_alu 0xfffd
	v_add_co_ci_u32_e32 v1, vcc_lo, s5, v1, vcc_lo
	s_delay_alu instid0(VALU_DEP_3) | instskip(SKIP_1) | instid1(VALU_DEP_1)
	v_and_or_b32 v3, 0x8000, v5, v4
	v_and_b32_e32 v2, 0xffff, v2
	v_lshl_or_b32 v2, v3, 16, v2
	global_store_b32 v[0:1], v2, off
	global_load_b32 v4, v51, s[8:9] offset:2700
	ds_load_2addr_b32 v[2:3], v8 offset0:163 offset1:238
	s_wait_dscnt 0x0
	v_lshrrev_b32_e32 v5, 16, v2
	s_wait_loadcnt 0x0
	v_lshrrev_b32_e32 v6, 16, v4
	s_delay_alu instid0(VALU_DEP_1) | instskip(SKIP_1) | instid1(VALU_DEP_2)
	v_mul_f16_e32 v7, v5, v6
	v_mul_f16_e32 v6, v2, v6
	v_fmac_f16_e32 v7, v2, v4
	s_delay_alu instid0(VALU_DEP_2) | instskip(NEXT) | instid1(VALU_DEP_2)
	v_fma_f16 v2, v4, v5, -v6
	v_cvt_f32_f16_e32 v4, v7
	s_delay_alu instid0(VALU_DEP_2) | instskip(NEXT) | instid1(VALU_DEP_2)
	v_cvt_f32_f16_e32 v2, v2
	v_cvt_f64_f32_e32 v[4:5], v4
	s_delay_alu instid0(VALU_DEP_2) | instskip(NEXT) | instid1(VALU_DEP_2)
	v_cvt_f64_f32_e32 v[6:7], v2
	v_mul_f64_e32 v[4:5], s[10:11], v[4:5]
	s_delay_alu instid0(VALU_DEP_2) | instskip(NEXT) | instid1(VALU_DEP_2)
	v_mul_f64_e32 v[6:7], s[10:11], v[6:7]
	v_and_or_b32 v2, 0x1ff, v5, v4
	s_delay_alu instid0(VALU_DEP_2)
	v_and_or_b32 v6, 0x1ff, v7, v6
	v_lshrrev_b32_e32 v4, 8, v5
	v_bfe_u32 v8, v5, 20, 11
	v_lshrrev_b32_e32 v9, 8, v7
	v_cmp_ne_u32_e32 vcc_lo, 0, v2
	v_bfe_u32 v10, v7, 20, 11
	v_lshrrev_b32_e32 v5, 16, v5
	v_sub_nc_u32_e32 v11, 0x3f1, v8
	v_add_nc_u32_e32 v8, 0xfffffc10, v8
	s_wait_alu 0xfffd
	v_cndmask_b32_e64 v2, 0, 1, vcc_lo
	v_cmp_ne_u32_e32 vcc_lo, 0, v6
	v_lshrrev_b32_e32 v7, 16, v7
	s_delay_alu instid0(VALU_DEP_3) | instskip(SKIP_4) | instid1(VALU_DEP_3)
	v_and_or_b32 v2, 0xffe, v4, v2
	s_wait_alu 0xfffd
	v_cndmask_b32_e64 v6, 0, 1, vcc_lo
	v_sub_nc_u32_e32 v4, 0x3f1, v10
	v_add_nc_u32_e32 v10, 0xfffffc10, v10
	v_and_or_b32 v6, 0xffe, v9, v6
	v_med3_i32 v9, v11, 0, 13
	v_or_b32_e32 v11, 0x1000, v2
	v_med3_i32 v4, v4, 0, 13
	s_delay_alu instid0(VALU_DEP_4) | instskip(NEXT) | instid1(VALU_DEP_3)
	v_or_b32_e32 v12, 0x1000, v6
	v_lshrrev_b32_e32 v13, v9, v11
	s_delay_alu instid0(VALU_DEP_2) | instskip(NEXT) | instid1(VALU_DEP_2)
	v_lshrrev_b32_e32 v14, v4, v12
	v_lshlrev_b32_e32 v9, v9, v13
	s_delay_alu instid0(VALU_DEP_2) | instskip(NEXT) | instid1(VALU_DEP_2)
	v_lshlrev_b32_e32 v4, v4, v14
	v_cmp_ne_u32_e32 vcc_lo, v9, v11
	v_lshl_or_b32 v11, v8, 12, v2
	s_wait_alu 0xfffd
	v_cndmask_b32_e64 v9, 0, 1, vcc_lo
	v_cmp_ne_u32_e32 vcc_lo, v4, v12
	v_lshl_or_b32 v12, v10, 12, v6
	s_delay_alu instid0(VALU_DEP_3) | instskip(SKIP_3) | instid1(VALU_DEP_2)
	v_or_b32_e32 v9, v13, v9
	s_wait_alu 0xfffd
	v_cndmask_b32_e64 v4, 0, 1, vcc_lo
	v_cmp_gt_i32_e32 vcc_lo, 1, v8
	v_or_b32_e32 v4, v14, v4
	s_wait_alu 0xfffd
	v_cndmask_b32_e32 v9, v11, v9, vcc_lo
	v_cmp_gt_i32_e32 vcc_lo, 1, v10
	s_wait_alu 0xfffd
	s_delay_alu instid0(VALU_DEP_2) | instskip(SKIP_2) | instid1(VALU_DEP_3)
	v_dual_cndmask_b32 v4, v12, v4 :: v_dual_and_b32 v11, 7, v9
	v_cmp_ne_u32_e32 vcc_lo, 0, v2
	v_lshrrev_b32_e32 v9, 2, v9
	v_cmp_eq_u32_e64 s0, 3, v11
	s_delay_alu instid0(VALU_DEP_4)
	v_and_b32_e32 v12, 7, v4
	s_wait_alu 0xfffd
	v_cndmask_b32_e64 v2, 0, 1, vcc_lo
	v_cmp_ne_u32_e32 vcc_lo, 0, v6
	v_lshrrev_b32_e32 v4, 2, v4
	v_cmp_lt_i32_e64 s1, 5, v12
	v_cmp_eq_u32_e64 s2, 3, v12
	s_wait_alu 0xfffd
	v_cndmask_b32_e64 v6, 0, 1, vcc_lo
	v_cmp_lt_i32_e32 vcc_lo, 5, v11
	v_lshl_or_b32 v2, v2, 9, 0x7c00
	s_delay_alu instid0(VALU_DEP_3)
	v_lshl_or_b32 v6, v6, 9, 0x7c00
	s_or_b32 vcc_lo, s0, vcc_lo
	s_wait_alu 0xfffe
	v_add_co_ci_u32_e32 v9, vcc_lo, 0, v9, vcc_lo
	s_or_b32 vcc_lo, s2, s1
	s_wait_alu 0xfffe
	v_add_co_ci_u32_e32 v4, vcc_lo, 0, v4, vcc_lo
	v_cmp_gt_i32_e32 vcc_lo, 31, v8
	s_wait_alu 0xfffd
	v_cndmask_b32_e32 v9, 0x7c00, v9, vcc_lo
	v_cmp_gt_i32_e32 vcc_lo, 31, v10
	s_wait_alu 0xfffd
	v_cndmask_b32_e32 v4, 0x7c00, v4, vcc_lo
	v_cmp_eq_u32_e32 vcc_lo, 0x40f, v8
	s_wait_alu 0xfffd
	v_cndmask_b32_e32 v2, v9, v2, vcc_lo
	v_cmp_eq_u32_e32 vcc_lo, 0x40f, v10
	s_delay_alu instid0(VALU_DEP_2)
	v_and_or_b32 v2, 0x8000, v5, v2
	s_wait_alu 0xfffd
	v_cndmask_b32_e32 v4, v4, v6, vcc_lo
	v_add_co_u32 v0, vcc_lo, v0, s4
	s_wait_alu 0xfffd
	v_add_co_ci_u32_e32 v1, vcc_lo, s5, v1, vcc_lo
	s_delay_alu instid0(VALU_DEP_3) | instskip(SKIP_1) | instid1(VALU_DEP_1)
	v_and_or_b32 v4, 0x8000, v7, v4
	v_and_b32_e32 v2, 0xffff, v2
	v_lshl_or_b32 v2, v4, 16, v2
	v_lshrrev_b32_e32 v4, 16, v3
	global_store_b32 v[0:1], v2, off
	global_load_b32 v2, v51, s[8:9] offset:3000
	s_wait_loadcnt 0x0
	v_lshrrev_b32_e32 v5, 16, v2
	s_delay_alu instid0(VALU_DEP_1) | instskip(SKIP_1) | instid1(VALU_DEP_2)
	v_mul_f16_e32 v6, v4, v5
	v_mul_f16_e32 v5, v3, v5
	v_fmac_f16_e32 v6, v3, v2
	s_delay_alu instid0(VALU_DEP_2) | instskip(NEXT) | instid1(VALU_DEP_2)
	v_fma_f16 v2, v2, v4, -v5
	v_cvt_f32_f16_e32 v3, v6
	s_delay_alu instid0(VALU_DEP_2) | instskip(NEXT) | instid1(VALU_DEP_2)
	v_cvt_f32_f16_e32 v4, v2
	v_cvt_f64_f32_e32 v[2:3], v3
	s_delay_alu instid0(VALU_DEP_2) | instskip(NEXT) | instid1(VALU_DEP_2)
	v_cvt_f64_f32_e32 v[4:5], v4
	v_mul_f64_e32 v[2:3], s[10:11], v[2:3]
	s_delay_alu instid0(VALU_DEP_2) | instskip(NEXT) | instid1(VALU_DEP_2)
	v_mul_f64_e32 v[4:5], s[10:11], v[4:5]
	v_and_or_b32 v2, 0x1ff, v3, v2
	s_delay_alu instid0(VALU_DEP_2)
	v_and_or_b32 v4, 0x1ff, v5, v4
	v_lshrrev_b32_e32 v6, 8, v3
	v_bfe_u32 v7, v3, 20, 11
	v_lshrrev_b32_e32 v8, 8, v5
	v_cmp_ne_u32_e32 vcc_lo, 0, v2
	v_bfe_u32 v9, v5, 20, 11
	v_lshrrev_b32_e32 v3, 16, v3
	v_sub_nc_u32_e32 v10, 0x3f1, v7
	v_add_nc_u32_e32 v7, 0xfffffc10, v7
	s_wait_alu 0xfffd
	v_cndmask_b32_e64 v2, 0, 1, vcc_lo
	v_cmp_ne_u32_e32 vcc_lo, 0, v4
	v_lshrrev_b32_e32 v5, 16, v5
	s_delay_alu instid0(VALU_DEP_3) | instskip(SKIP_4) | instid1(VALU_DEP_3)
	v_and_or_b32 v2, 0xffe, v6, v2
	s_wait_alu 0xfffd
	v_cndmask_b32_e64 v4, 0, 1, vcc_lo
	v_sub_nc_u32_e32 v6, 0x3f1, v9
	v_add_nc_u32_e32 v9, 0xfffffc10, v9
	v_and_or_b32 v4, 0xffe, v8, v4
	v_med3_i32 v8, v10, 0, 13
	v_or_b32_e32 v10, 0x1000, v2
	v_med3_i32 v6, v6, 0, 13
	s_delay_alu instid0(VALU_DEP_4) | instskip(NEXT) | instid1(VALU_DEP_3)
	v_or_b32_e32 v11, 0x1000, v4
	v_lshrrev_b32_e32 v12, v8, v10
	s_delay_alu instid0(VALU_DEP_2) | instskip(NEXT) | instid1(VALU_DEP_2)
	v_lshrrev_b32_e32 v13, v6, v11
	v_lshlrev_b32_e32 v8, v8, v12
	s_delay_alu instid0(VALU_DEP_2) | instskip(NEXT) | instid1(VALU_DEP_2)
	v_lshlrev_b32_e32 v6, v6, v13
	v_cmp_ne_u32_e32 vcc_lo, v8, v10
	v_lshl_or_b32 v10, v7, 12, v2
	s_wait_alu 0xfffd
	v_cndmask_b32_e64 v8, 0, 1, vcc_lo
	v_cmp_ne_u32_e32 vcc_lo, v6, v11
	v_lshl_or_b32 v11, v9, 12, v4
	s_delay_alu instid0(VALU_DEP_3) | instskip(SKIP_3) | instid1(VALU_DEP_2)
	v_or_b32_e32 v8, v12, v8
	s_wait_alu 0xfffd
	v_cndmask_b32_e64 v6, 0, 1, vcc_lo
	v_cmp_gt_i32_e32 vcc_lo, 1, v7
	v_or_b32_e32 v6, v13, v6
	s_wait_alu 0xfffd
	v_cndmask_b32_e32 v8, v10, v8, vcc_lo
	v_cmp_gt_i32_e32 vcc_lo, 1, v9
	s_delay_alu instid0(VALU_DEP_2)
	v_and_b32_e32 v10, 7, v8
	s_wait_alu 0xfffd
	v_cndmask_b32_e32 v6, v11, v6, vcc_lo
	v_cmp_ne_u32_e32 vcc_lo, 0, v2
	v_lshrrev_b32_e32 v8, 2, v8
	v_cmp_eq_u32_e64 s0, 3, v10
	s_delay_alu instid0(VALU_DEP_4)
	v_and_b32_e32 v11, 7, v6
	s_wait_alu 0xfffd
	v_cndmask_b32_e64 v2, 0, 1, vcc_lo
	v_cmp_ne_u32_e32 vcc_lo, 0, v4
	v_lshrrev_b32_e32 v6, 2, v6
	v_cmp_lt_i32_e64 s1, 5, v11
	v_cmp_eq_u32_e64 s2, 3, v11
	s_wait_alu 0xfffd
	v_cndmask_b32_e64 v4, 0, 1, vcc_lo
	v_cmp_lt_i32_e32 vcc_lo, 5, v10
	v_lshl_or_b32 v2, v2, 9, 0x7c00
	s_delay_alu instid0(VALU_DEP_3)
	v_lshl_or_b32 v4, v4, 9, 0x7c00
	s_or_b32 vcc_lo, s0, vcc_lo
	s_wait_alu 0xfffe
	v_add_co_ci_u32_e32 v8, vcc_lo, 0, v8, vcc_lo
	s_or_b32 vcc_lo, s2, s1
	s_wait_alu 0xfffe
	v_add_co_ci_u32_e32 v6, vcc_lo, 0, v6, vcc_lo
	v_cmp_gt_i32_e32 vcc_lo, 31, v7
	s_wait_alu 0xfffd
	v_cndmask_b32_e32 v8, 0x7c00, v8, vcc_lo
	v_cmp_gt_i32_e32 vcc_lo, 31, v9
	s_wait_alu 0xfffd
	v_cndmask_b32_e32 v6, 0x7c00, v6, vcc_lo
	v_cmp_eq_u32_e32 vcc_lo, 0x40f, v7
	s_wait_alu 0xfffd
	v_cndmask_b32_e32 v2, v8, v2, vcc_lo
	v_cmp_eq_u32_e32 vcc_lo, 0x40f, v9
	s_delay_alu instid0(VALU_DEP_2)
	v_and_or_b32 v2, 0x8000, v3, v2
	s_wait_alu 0xfffd
	v_cndmask_b32_e32 v4, v6, v4, vcc_lo
	v_add_co_u32 v0, vcc_lo, v0, s4
	s_wait_alu 0xfffd
	v_add_co_ci_u32_e32 v1, vcc_lo, s5, v1, vcc_lo
	s_delay_alu instid0(VALU_DEP_3) | instskip(SKIP_1) | instid1(VALU_DEP_1)
	v_and_or_b32 v3, 0x8000, v5, v4
	v_and_b32_e32 v2, 0xffff, v2
	v_lshl_or_b32 v2, v3, 16, v2
	global_store_b32 v[0:1], v2, off
	global_load_b32 v4, v51, s[8:9] offset:3300
	v_add_nc_u32_e32 v2, 0xc00, v53
	ds_load_2addr_b32 v[2:3], v2 offset0:57 offset1:132
	s_wait_dscnt 0x0
	v_lshrrev_b32_e32 v5, 16, v2
	s_wait_loadcnt 0x0
	v_lshrrev_b32_e32 v6, 16, v4
	s_delay_alu instid0(VALU_DEP_1) | instskip(SKIP_1) | instid1(VALU_DEP_2)
	v_mul_f16_e32 v7, v5, v6
	v_mul_f16_e32 v6, v2, v6
	v_fmac_f16_e32 v7, v2, v4
	s_delay_alu instid0(VALU_DEP_2) | instskip(NEXT) | instid1(VALU_DEP_2)
	v_fma_f16 v2, v4, v5, -v6
	v_cvt_f32_f16_e32 v4, v7
	s_delay_alu instid0(VALU_DEP_2) | instskip(NEXT) | instid1(VALU_DEP_2)
	v_cvt_f32_f16_e32 v2, v2
	v_cvt_f64_f32_e32 v[4:5], v4
	s_delay_alu instid0(VALU_DEP_2) | instskip(NEXT) | instid1(VALU_DEP_2)
	v_cvt_f64_f32_e32 v[6:7], v2
	v_mul_f64_e32 v[4:5], s[10:11], v[4:5]
	s_delay_alu instid0(VALU_DEP_2) | instskip(NEXT) | instid1(VALU_DEP_2)
	v_mul_f64_e32 v[6:7], s[10:11], v[6:7]
	v_and_or_b32 v2, 0x1ff, v5, v4
	s_delay_alu instid0(VALU_DEP_2)
	v_and_or_b32 v6, 0x1ff, v7, v6
	v_lshrrev_b32_e32 v4, 8, v5
	v_bfe_u32 v8, v5, 20, 11
	v_lshrrev_b32_e32 v9, 8, v7
	v_cmp_ne_u32_e32 vcc_lo, 0, v2
	v_bfe_u32 v10, v7, 20, 11
	v_lshrrev_b32_e32 v5, 16, v5
	v_sub_nc_u32_e32 v11, 0x3f1, v8
	v_add_nc_u32_e32 v8, 0xfffffc10, v8
	s_wait_alu 0xfffd
	v_cndmask_b32_e64 v2, 0, 1, vcc_lo
	v_cmp_ne_u32_e32 vcc_lo, 0, v6
	v_lshrrev_b32_e32 v7, 16, v7
	s_delay_alu instid0(VALU_DEP_3) | instskip(SKIP_4) | instid1(VALU_DEP_3)
	v_and_or_b32 v2, 0xffe, v4, v2
	s_wait_alu 0xfffd
	v_cndmask_b32_e64 v6, 0, 1, vcc_lo
	v_sub_nc_u32_e32 v4, 0x3f1, v10
	v_add_nc_u32_e32 v10, 0xfffffc10, v10
	v_and_or_b32 v6, 0xffe, v9, v6
	v_med3_i32 v9, v11, 0, 13
	v_or_b32_e32 v11, 0x1000, v2
	v_med3_i32 v4, v4, 0, 13
	s_delay_alu instid0(VALU_DEP_4) | instskip(NEXT) | instid1(VALU_DEP_3)
	v_or_b32_e32 v12, 0x1000, v6
	v_lshrrev_b32_e32 v13, v9, v11
	s_delay_alu instid0(VALU_DEP_2) | instskip(NEXT) | instid1(VALU_DEP_2)
	v_lshrrev_b32_e32 v14, v4, v12
	v_lshlrev_b32_e32 v9, v9, v13
	s_delay_alu instid0(VALU_DEP_2) | instskip(NEXT) | instid1(VALU_DEP_2)
	v_lshlrev_b32_e32 v4, v4, v14
	v_cmp_ne_u32_e32 vcc_lo, v9, v11
	v_lshl_or_b32 v11, v8, 12, v2
	s_wait_alu 0xfffd
	v_cndmask_b32_e64 v9, 0, 1, vcc_lo
	v_cmp_ne_u32_e32 vcc_lo, v4, v12
	v_lshl_or_b32 v12, v10, 12, v6
	s_delay_alu instid0(VALU_DEP_3) | instskip(SKIP_3) | instid1(VALU_DEP_2)
	v_or_b32_e32 v9, v13, v9
	s_wait_alu 0xfffd
	v_cndmask_b32_e64 v4, 0, 1, vcc_lo
	v_cmp_gt_i32_e32 vcc_lo, 1, v8
	v_or_b32_e32 v4, v14, v4
	s_wait_alu 0xfffd
	v_cndmask_b32_e32 v9, v11, v9, vcc_lo
	v_cmp_gt_i32_e32 vcc_lo, 1, v10
	s_wait_alu 0xfffd
	s_delay_alu instid0(VALU_DEP_2) | instskip(SKIP_2) | instid1(VALU_DEP_3)
	v_dual_cndmask_b32 v4, v12, v4 :: v_dual_and_b32 v11, 7, v9
	v_cmp_ne_u32_e32 vcc_lo, 0, v2
	v_lshrrev_b32_e32 v9, 2, v9
	v_cmp_eq_u32_e64 s0, 3, v11
	s_delay_alu instid0(VALU_DEP_4)
	v_and_b32_e32 v12, 7, v4
	s_wait_alu 0xfffd
	v_cndmask_b32_e64 v2, 0, 1, vcc_lo
	v_cmp_ne_u32_e32 vcc_lo, 0, v6
	v_lshrrev_b32_e32 v4, 2, v4
	v_cmp_lt_i32_e64 s1, 5, v12
	v_cmp_eq_u32_e64 s2, 3, v12
	s_wait_alu 0xfffd
	v_cndmask_b32_e64 v6, 0, 1, vcc_lo
	v_cmp_lt_i32_e32 vcc_lo, 5, v11
	v_lshl_or_b32 v2, v2, 9, 0x7c00
	s_delay_alu instid0(VALU_DEP_3)
	v_lshl_or_b32 v6, v6, 9, 0x7c00
	s_or_b32 vcc_lo, s0, vcc_lo
	s_wait_alu 0xfffe
	v_add_co_ci_u32_e32 v9, vcc_lo, 0, v9, vcc_lo
	s_or_b32 vcc_lo, s2, s1
	s_wait_alu 0xfffe
	v_add_co_ci_u32_e32 v4, vcc_lo, 0, v4, vcc_lo
	v_cmp_gt_i32_e32 vcc_lo, 31, v8
	s_wait_alu 0xfffd
	v_cndmask_b32_e32 v9, 0x7c00, v9, vcc_lo
	v_cmp_gt_i32_e32 vcc_lo, 31, v10
	s_wait_alu 0xfffd
	v_cndmask_b32_e32 v4, 0x7c00, v4, vcc_lo
	v_cmp_eq_u32_e32 vcc_lo, 0x40f, v8
	s_wait_alu 0xfffd
	v_cndmask_b32_e32 v2, v9, v2, vcc_lo
	v_cmp_eq_u32_e32 vcc_lo, 0x40f, v10
	s_delay_alu instid0(VALU_DEP_2)
	v_and_or_b32 v2, 0x8000, v5, v2
	s_wait_alu 0xfffd
	v_cndmask_b32_e32 v4, v4, v6, vcc_lo
	v_add_co_u32 v0, vcc_lo, v0, s4
	s_wait_alu 0xfffd
	v_add_co_ci_u32_e32 v1, vcc_lo, s5, v1, vcc_lo
	s_delay_alu instid0(VALU_DEP_3) | instskip(SKIP_1) | instid1(VALU_DEP_1)
	v_and_or_b32 v4, 0x8000, v7, v4
	v_and_b32_e32 v2, 0xffff, v2
	v_lshl_or_b32 v2, v4, 16, v2
	v_lshrrev_b32_e32 v4, 16, v3
	global_store_b32 v[0:1], v2, off
	global_load_b32 v2, v51, s[8:9] offset:3600
	s_wait_loadcnt 0x0
	v_lshrrev_b32_e32 v5, 16, v2
	s_delay_alu instid0(VALU_DEP_1) | instskip(SKIP_1) | instid1(VALU_DEP_2)
	v_mul_f16_e32 v6, v4, v5
	v_mul_f16_e32 v5, v3, v5
	v_fmac_f16_e32 v6, v3, v2
	s_delay_alu instid0(VALU_DEP_2) | instskip(NEXT) | instid1(VALU_DEP_2)
	v_fma_f16 v2, v2, v4, -v5
	v_cvt_f32_f16_e32 v3, v6
	s_delay_alu instid0(VALU_DEP_2) | instskip(NEXT) | instid1(VALU_DEP_2)
	v_cvt_f32_f16_e32 v4, v2
	v_cvt_f64_f32_e32 v[2:3], v3
	s_delay_alu instid0(VALU_DEP_2) | instskip(NEXT) | instid1(VALU_DEP_2)
	v_cvt_f64_f32_e32 v[4:5], v4
	v_mul_f64_e32 v[2:3], s[10:11], v[2:3]
	s_delay_alu instid0(VALU_DEP_2) | instskip(NEXT) | instid1(VALU_DEP_2)
	v_mul_f64_e32 v[4:5], s[10:11], v[4:5]
	v_and_or_b32 v2, 0x1ff, v3, v2
	s_delay_alu instid0(VALU_DEP_2)
	v_and_or_b32 v4, 0x1ff, v5, v4
	v_lshrrev_b32_e32 v6, 8, v3
	v_bfe_u32 v7, v3, 20, 11
	v_lshrrev_b32_e32 v8, 8, v5
	v_cmp_ne_u32_e32 vcc_lo, 0, v2
	v_bfe_u32 v9, v5, 20, 11
	v_lshrrev_b32_e32 v3, 16, v3
	v_sub_nc_u32_e32 v10, 0x3f1, v7
	v_add_nc_u32_e32 v7, 0xfffffc10, v7
	s_wait_alu 0xfffd
	v_cndmask_b32_e64 v2, 0, 1, vcc_lo
	v_cmp_ne_u32_e32 vcc_lo, 0, v4
	v_lshrrev_b32_e32 v5, 16, v5
	s_delay_alu instid0(VALU_DEP_3) | instskip(SKIP_4) | instid1(VALU_DEP_3)
	v_and_or_b32 v2, 0xffe, v6, v2
	s_wait_alu 0xfffd
	v_cndmask_b32_e64 v4, 0, 1, vcc_lo
	v_sub_nc_u32_e32 v6, 0x3f1, v9
	v_add_nc_u32_e32 v9, 0xfffffc10, v9
	v_and_or_b32 v4, 0xffe, v8, v4
	v_med3_i32 v8, v10, 0, 13
	v_or_b32_e32 v10, 0x1000, v2
	v_med3_i32 v6, v6, 0, 13
	s_delay_alu instid0(VALU_DEP_4) | instskip(NEXT) | instid1(VALU_DEP_3)
	v_or_b32_e32 v11, 0x1000, v4
	v_lshrrev_b32_e32 v12, v8, v10
	s_delay_alu instid0(VALU_DEP_2) | instskip(NEXT) | instid1(VALU_DEP_2)
	v_lshrrev_b32_e32 v13, v6, v11
	v_lshlrev_b32_e32 v8, v8, v12
	s_delay_alu instid0(VALU_DEP_2) | instskip(NEXT) | instid1(VALU_DEP_2)
	v_lshlrev_b32_e32 v6, v6, v13
	v_cmp_ne_u32_e32 vcc_lo, v8, v10
	v_lshl_or_b32 v10, v7, 12, v2
	s_wait_alu 0xfffd
	v_cndmask_b32_e64 v8, 0, 1, vcc_lo
	v_cmp_ne_u32_e32 vcc_lo, v6, v11
	v_lshl_or_b32 v11, v9, 12, v4
	s_delay_alu instid0(VALU_DEP_3) | instskip(SKIP_3) | instid1(VALU_DEP_2)
	v_or_b32_e32 v8, v12, v8
	s_wait_alu 0xfffd
	v_cndmask_b32_e64 v6, 0, 1, vcc_lo
	v_cmp_gt_i32_e32 vcc_lo, 1, v7
	v_or_b32_e32 v6, v13, v6
	s_wait_alu 0xfffd
	v_cndmask_b32_e32 v8, v10, v8, vcc_lo
	v_cmp_gt_i32_e32 vcc_lo, 1, v9
	s_delay_alu instid0(VALU_DEP_2)
	v_and_b32_e32 v10, 7, v8
	s_wait_alu 0xfffd
	v_cndmask_b32_e32 v6, v11, v6, vcc_lo
	v_cmp_ne_u32_e32 vcc_lo, 0, v2
	v_lshrrev_b32_e32 v8, 2, v8
	v_cmp_eq_u32_e64 s0, 3, v10
	s_delay_alu instid0(VALU_DEP_4)
	v_and_b32_e32 v11, 7, v6
	s_wait_alu 0xfffd
	v_cndmask_b32_e64 v2, 0, 1, vcc_lo
	v_cmp_ne_u32_e32 vcc_lo, 0, v4
	v_lshrrev_b32_e32 v6, 2, v6
	v_cmp_lt_i32_e64 s1, 5, v11
	v_cmp_eq_u32_e64 s2, 3, v11
	s_wait_alu 0xfffd
	v_cndmask_b32_e64 v4, 0, 1, vcc_lo
	v_cmp_lt_i32_e32 vcc_lo, 5, v10
	v_lshl_or_b32 v2, v2, 9, 0x7c00
	s_delay_alu instid0(VALU_DEP_3)
	v_lshl_or_b32 v4, v4, 9, 0x7c00
	s_or_b32 vcc_lo, s0, vcc_lo
	s_wait_alu 0xfffe
	v_add_co_ci_u32_e32 v8, vcc_lo, 0, v8, vcc_lo
	s_or_b32 vcc_lo, s2, s1
	s_wait_alu 0xfffe
	v_add_co_ci_u32_e32 v6, vcc_lo, 0, v6, vcc_lo
	v_cmp_gt_i32_e32 vcc_lo, 31, v7
	s_wait_alu 0xfffd
	v_cndmask_b32_e32 v8, 0x7c00, v8, vcc_lo
	v_cmp_gt_i32_e32 vcc_lo, 31, v9
	s_wait_alu 0xfffd
	v_cndmask_b32_e32 v6, 0x7c00, v6, vcc_lo
	v_cmp_eq_u32_e32 vcc_lo, 0x40f, v7
	s_wait_alu 0xfffd
	v_cndmask_b32_e32 v2, v8, v2, vcc_lo
	v_cmp_eq_u32_e32 vcc_lo, 0x40f, v9
	s_delay_alu instid0(VALU_DEP_2)
	v_and_or_b32 v2, 0x8000, v3, v2
	s_wait_alu 0xfffd
	v_cndmask_b32_e32 v4, v6, v4, vcc_lo
	v_add_co_u32 v0, vcc_lo, v0, s4
	s_wait_alu 0xfffd
	v_add_co_ci_u32_e32 v1, vcc_lo, s5, v1, vcc_lo
	s_delay_alu instid0(VALU_DEP_3) | instskip(SKIP_1) | instid1(VALU_DEP_1)
	v_and_or_b32 v3, 0x8000, v5, v4
	v_and_b32_e32 v2, 0xffff, v2
	v_lshl_or_b32 v2, v3, 16, v2
	global_store_b32 v[0:1], v2, off
	global_load_b32 v4, v51, s[8:9] offset:3900
	v_add_nc_u32_e32 v2, 0xe00, v53
	ds_load_2addr_b32 v[2:3], v2 offset0:79 offset1:154
	s_wait_dscnt 0x0
	v_lshrrev_b32_e32 v5, 16, v2
	s_wait_loadcnt 0x0
	v_lshrrev_b32_e32 v6, 16, v4
	s_delay_alu instid0(VALU_DEP_1) | instskip(SKIP_1) | instid1(VALU_DEP_2)
	v_mul_f16_e32 v7, v5, v6
	v_mul_f16_e32 v6, v2, v6
	v_fmac_f16_e32 v7, v2, v4
	s_delay_alu instid0(VALU_DEP_2) | instskip(NEXT) | instid1(VALU_DEP_2)
	v_fma_f16 v2, v4, v5, -v6
	v_cvt_f32_f16_e32 v4, v7
	s_delay_alu instid0(VALU_DEP_2) | instskip(NEXT) | instid1(VALU_DEP_2)
	v_cvt_f32_f16_e32 v2, v2
	v_cvt_f64_f32_e32 v[4:5], v4
	s_delay_alu instid0(VALU_DEP_2) | instskip(NEXT) | instid1(VALU_DEP_2)
	v_cvt_f64_f32_e32 v[6:7], v2
	v_mul_f64_e32 v[4:5], s[10:11], v[4:5]
	s_delay_alu instid0(VALU_DEP_2) | instskip(NEXT) | instid1(VALU_DEP_2)
	v_mul_f64_e32 v[6:7], s[10:11], v[6:7]
	v_and_or_b32 v2, 0x1ff, v5, v4
	s_delay_alu instid0(VALU_DEP_2)
	v_and_or_b32 v6, 0x1ff, v7, v6
	v_lshrrev_b32_e32 v4, 8, v5
	v_bfe_u32 v8, v5, 20, 11
	v_lshrrev_b32_e32 v9, 8, v7
	v_cmp_ne_u32_e32 vcc_lo, 0, v2
	v_bfe_u32 v10, v7, 20, 11
	v_lshrrev_b32_e32 v5, 16, v5
	v_sub_nc_u32_e32 v11, 0x3f1, v8
	v_add_nc_u32_e32 v8, 0xfffffc10, v8
	s_wait_alu 0xfffd
	v_cndmask_b32_e64 v2, 0, 1, vcc_lo
	v_cmp_ne_u32_e32 vcc_lo, 0, v6
	v_lshrrev_b32_e32 v7, 16, v7
	s_delay_alu instid0(VALU_DEP_3) | instskip(SKIP_4) | instid1(VALU_DEP_3)
	v_and_or_b32 v2, 0xffe, v4, v2
	s_wait_alu 0xfffd
	v_cndmask_b32_e64 v6, 0, 1, vcc_lo
	v_sub_nc_u32_e32 v4, 0x3f1, v10
	v_add_nc_u32_e32 v10, 0xfffffc10, v10
	v_and_or_b32 v6, 0xffe, v9, v6
	v_med3_i32 v9, v11, 0, 13
	v_or_b32_e32 v11, 0x1000, v2
	v_med3_i32 v4, v4, 0, 13
	s_delay_alu instid0(VALU_DEP_4) | instskip(NEXT) | instid1(VALU_DEP_3)
	v_or_b32_e32 v12, 0x1000, v6
	v_lshrrev_b32_e32 v13, v9, v11
	s_delay_alu instid0(VALU_DEP_2) | instskip(NEXT) | instid1(VALU_DEP_2)
	v_lshrrev_b32_e32 v14, v4, v12
	v_lshlrev_b32_e32 v9, v9, v13
	s_delay_alu instid0(VALU_DEP_2) | instskip(NEXT) | instid1(VALU_DEP_2)
	v_lshlrev_b32_e32 v4, v4, v14
	v_cmp_ne_u32_e32 vcc_lo, v9, v11
	v_lshl_or_b32 v11, v8, 12, v2
	s_wait_alu 0xfffd
	v_cndmask_b32_e64 v9, 0, 1, vcc_lo
	v_cmp_ne_u32_e32 vcc_lo, v4, v12
	v_lshl_or_b32 v12, v10, 12, v6
	s_delay_alu instid0(VALU_DEP_3) | instskip(SKIP_3) | instid1(VALU_DEP_2)
	v_or_b32_e32 v9, v13, v9
	s_wait_alu 0xfffd
	v_cndmask_b32_e64 v4, 0, 1, vcc_lo
	v_cmp_gt_i32_e32 vcc_lo, 1, v8
	v_or_b32_e32 v4, v14, v4
	s_wait_alu 0xfffd
	v_cndmask_b32_e32 v9, v11, v9, vcc_lo
	v_cmp_gt_i32_e32 vcc_lo, 1, v10
	s_wait_alu 0xfffd
	s_delay_alu instid0(VALU_DEP_2) | instskip(SKIP_2) | instid1(VALU_DEP_3)
	v_dual_cndmask_b32 v4, v12, v4 :: v_dual_and_b32 v11, 7, v9
	v_cmp_ne_u32_e32 vcc_lo, 0, v2
	v_lshrrev_b32_e32 v9, 2, v9
	v_cmp_eq_u32_e64 s0, 3, v11
	s_delay_alu instid0(VALU_DEP_4)
	v_and_b32_e32 v12, 7, v4
	s_wait_alu 0xfffd
	v_cndmask_b32_e64 v2, 0, 1, vcc_lo
	v_cmp_ne_u32_e32 vcc_lo, 0, v6
	v_lshrrev_b32_e32 v4, 2, v4
	v_cmp_lt_i32_e64 s1, 5, v12
	v_cmp_eq_u32_e64 s2, 3, v12
	s_wait_alu 0xfffd
	v_cndmask_b32_e64 v6, 0, 1, vcc_lo
	v_cmp_lt_i32_e32 vcc_lo, 5, v11
	v_lshl_or_b32 v2, v2, 9, 0x7c00
	s_delay_alu instid0(VALU_DEP_3)
	v_lshl_or_b32 v6, v6, 9, 0x7c00
	s_or_b32 vcc_lo, s0, vcc_lo
	s_wait_alu 0xfffe
	v_add_co_ci_u32_e32 v9, vcc_lo, 0, v9, vcc_lo
	s_or_b32 vcc_lo, s2, s1
	s_wait_alu 0xfffe
	v_add_co_ci_u32_e32 v4, vcc_lo, 0, v4, vcc_lo
	v_cmp_gt_i32_e32 vcc_lo, 31, v8
	s_wait_alu 0xfffd
	v_cndmask_b32_e32 v9, 0x7c00, v9, vcc_lo
	v_cmp_gt_i32_e32 vcc_lo, 31, v10
	s_wait_alu 0xfffd
	v_cndmask_b32_e32 v4, 0x7c00, v4, vcc_lo
	v_cmp_eq_u32_e32 vcc_lo, 0x40f, v8
	s_wait_alu 0xfffd
	v_cndmask_b32_e32 v2, v9, v2, vcc_lo
	v_cmp_eq_u32_e32 vcc_lo, 0x40f, v10
	s_delay_alu instid0(VALU_DEP_2)
	v_and_or_b32 v2, 0x8000, v5, v2
	s_wait_alu 0xfffd
	v_cndmask_b32_e32 v4, v4, v6, vcc_lo
	v_add_co_u32 v0, vcc_lo, v0, s4
	s_wait_alu 0xfffd
	v_add_co_ci_u32_e32 v1, vcc_lo, s5, v1, vcc_lo
	s_delay_alu instid0(VALU_DEP_3) | instskip(SKIP_1) | instid1(VALU_DEP_1)
	v_and_or_b32 v4, 0x8000, v7, v4
	v_and_b32_e32 v2, 0xffff, v2
	v_lshl_or_b32 v2, v4, 16, v2
	v_lshrrev_b32_e32 v4, 16, v3
	global_store_b32 v[0:1], v2, off
	global_load_b32 v2, v51, s[8:9] offset:4200
	s_wait_loadcnt 0x0
	v_lshrrev_b32_e32 v5, 16, v2
	s_delay_alu instid0(VALU_DEP_1) | instskip(SKIP_1) | instid1(VALU_DEP_2)
	v_mul_f16_e32 v6, v4, v5
	v_mul_f16_e32 v5, v3, v5
	v_fmac_f16_e32 v6, v3, v2
	s_delay_alu instid0(VALU_DEP_2) | instskip(NEXT) | instid1(VALU_DEP_2)
	v_fma_f16 v2, v2, v4, -v5
	v_cvt_f32_f16_e32 v3, v6
	s_delay_alu instid0(VALU_DEP_2) | instskip(NEXT) | instid1(VALU_DEP_2)
	v_cvt_f32_f16_e32 v4, v2
	v_cvt_f64_f32_e32 v[2:3], v3
	s_delay_alu instid0(VALU_DEP_2) | instskip(NEXT) | instid1(VALU_DEP_2)
	v_cvt_f64_f32_e32 v[4:5], v4
	v_mul_f64_e32 v[2:3], s[10:11], v[2:3]
	s_delay_alu instid0(VALU_DEP_2) | instskip(NEXT) | instid1(VALU_DEP_2)
	v_mul_f64_e32 v[4:5], s[10:11], v[4:5]
	v_and_or_b32 v2, 0x1ff, v3, v2
	s_delay_alu instid0(VALU_DEP_2)
	v_and_or_b32 v4, 0x1ff, v5, v4
	v_lshrrev_b32_e32 v6, 8, v3
	v_bfe_u32 v7, v3, 20, 11
	v_lshrrev_b32_e32 v8, 8, v5
	v_cmp_ne_u32_e32 vcc_lo, 0, v2
	v_bfe_u32 v9, v5, 20, 11
	v_lshrrev_b32_e32 v3, 16, v3
	v_sub_nc_u32_e32 v10, 0x3f1, v7
	v_add_nc_u32_e32 v7, 0xfffffc10, v7
	s_wait_alu 0xfffd
	v_cndmask_b32_e64 v2, 0, 1, vcc_lo
	v_cmp_ne_u32_e32 vcc_lo, 0, v4
	v_lshrrev_b32_e32 v5, 16, v5
	s_delay_alu instid0(VALU_DEP_3) | instskip(SKIP_4) | instid1(VALU_DEP_3)
	v_and_or_b32 v2, 0xffe, v6, v2
	s_wait_alu 0xfffd
	v_cndmask_b32_e64 v4, 0, 1, vcc_lo
	v_sub_nc_u32_e32 v6, 0x3f1, v9
	v_add_nc_u32_e32 v9, 0xfffffc10, v9
	v_and_or_b32 v4, 0xffe, v8, v4
	v_med3_i32 v8, v10, 0, 13
	v_or_b32_e32 v10, 0x1000, v2
	v_med3_i32 v6, v6, 0, 13
	s_delay_alu instid0(VALU_DEP_4) | instskip(NEXT) | instid1(VALU_DEP_3)
	v_or_b32_e32 v11, 0x1000, v4
	v_lshrrev_b32_e32 v12, v8, v10
	s_delay_alu instid0(VALU_DEP_2) | instskip(NEXT) | instid1(VALU_DEP_2)
	v_lshrrev_b32_e32 v13, v6, v11
	v_lshlrev_b32_e32 v8, v8, v12
	s_delay_alu instid0(VALU_DEP_2) | instskip(NEXT) | instid1(VALU_DEP_2)
	v_lshlrev_b32_e32 v6, v6, v13
	v_cmp_ne_u32_e32 vcc_lo, v8, v10
	v_lshl_or_b32 v10, v7, 12, v2
	s_wait_alu 0xfffd
	v_cndmask_b32_e64 v8, 0, 1, vcc_lo
	v_cmp_ne_u32_e32 vcc_lo, v6, v11
	v_lshl_or_b32 v11, v9, 12, v4
	s_delay_alu instid0(VALU_DEP_3) | instskip(SKIP_3) | instid1(VALU_DEP_2)
	v_or_b32_e32 v8, v12, v8
	s_wait_alu 0xfffd
	v_cndmask_b32_e64 v6, 0, 1, vcc_lo
	v_cmp_gt_i32_e32 vcc_lo, 1, v7
	v_or_b32_e32 v6, v13, v6
	s_wait_alu 0xfffd
	v_cndmask_b32_e32 v8, v10, v8, vcc_lo
	v_cmp_gt_i32_e32 vcc_lo, 1, v9
	s_delay_alu instid0(VALU_DEP_2)
	v_and_b32_e32 v10, 7, v8
	s_wait_alu 0xfffd
	v_cndmask_b32_e32 v6, v11, v6, vcc_lo
	v_cmp_ne_u32_e32 vcc_lo, 0, v2
	v_lshrrev_b32_e32 v8, 2, v8
	v_cmp_eq_u32_e64 s0, 3, v10
	s_delay_alu instid0(VALU_DEP_4)
	v_and_b32_e32 v11, 7, v6
	s_wait_alu 0xfffd
	v_cndmask_b32_e64 v2, 0, 1, vcc_lo
	v_cmp_ne_u32_e32 vcc_lo, 0, v4
	v_lshrrev_b32_e32 v6, 2, v6
	v_cmp_lt_i32_e64 s1, 5, v11
	v_cmp_eq_u32_e64 s2, 3, v11
	s_wait_alu 0xfffd
	v_cndmask_b32_e64 v4, 0, 1, vcc_lo
	v_cmp_lt_i32_e32 vcc_lo, 5, v10
	v_lshl_or_b32 v2, v2, 9, 0x7c00
	s_delay_alu instid0(VALU_DEP_3)
	v_lshl_or_b32 v4, v4, 9, 0x7c00
	s_or_b32 vcc_lo, s0, vcc_lo
	s_wait_alu 0xfffe
	v_add_co_ci_u32_e32 v8, vcc_lo, 0, v8, vcc_lo
	s_or_b32 vcc_lo, s2, s1
	s_wait_alu 0xfffe
	v_add_co_ci_u32_e32 v6, vcc_lo, 0, v6, vcc_lo
	v_cmp_gt_i32_e32 vcc_lo, 31, v7
	s_wait_alu 0xfffd
	v_cndmask_b32_e32 v8, 0x7c00, v8, vcc_lo
	v_cmp_gt_i32_e32 vcc_lo, 31, v9
	s_wait_alu 0xfffd
	v_cndmask_b32_e32 v6, 0x7c00, v6, vcc_lo
	v_cmp_eq_u32_e32 vcc_lo, 0x40f, v7
	s_wait_alu 0xfffd
	v_cndmask_b32_e32 v2, v8, v2, vcc_lo
	v_cmp_eq_u32_e32 vcc_lo, 0x40f, v9
	s_delay_alu instid0(VALU_DEP_2)
	v_and_or_b32 v2, 0x8000, v3, v2
	s_wait_alu 0xfffd
	v_cndmask_b32_e32 v4, v6, v4, vcc_lo
	v_add_co_u32 v0, vcc_lo, v0, s4
	s_wait_alu 0xfffd
	v_add_co_ci_u32_e32 v1, vcc_lo, s5, v1, vcc_lo
	s_delay_alu instid0(VALU_DEP_3) | instskip(SKIP_1) | instid1(VALU_DEP_1)
	v_and_or_b32 v3, 0x8000, v5, v4
	v_and_b32_e32 v2, 0xffff, v2
	v_lshl_or_b32 v2, v3, 16, v2
	global_store_b32 v[0:1], v2, off
	global_load_b32 v4, v51, s[8:9] offset:4500
	v_add_nc_u32_e32 v2, 0x1000, v53
	ds_load_2addr_b32 v[2:3], v2 offset0:101 offset1:176
	s_wait_dscnt 0x0
	v_lshrrev_b32_e32 v5, 16, v2
	s_wait_loadcnt 0x0
	v_lshrrev_b32_e32 v6, 16, v4
	s_delay_alu instid0(VALU_DEP_1) | instskip(SKIP_1) | instid1(VALU_DEP_2)
	v_mul_f16_e32 v7, v5, v6
	v_mul_f16_e32 v6, v2, v6
	v_fmac_f16_e32 v7, v2, v4
	s_delay_alu instid0(VALU_DEP_2) | instskip(NEXT) | instid1(VALU_DEP_2)
	v_fma_f16 v2, v4, v5, -v6
	v_cvt_f32_f16_e32 v4, v7
	s_delay_alu instid0(VALU_DEP_2) | instskip(NEXT) | instid1(VALU_DEP_2)
	v_cvt_f32_f16_e32 v2, v2
	v_cvt_f64_f32_e32 v[4:5], v4
	s_delay_alu instid0(VALU_DEP_2) | instskip(NEXT) | instid1(VALU_DEP_2)
	v_cvt_f64_f32_e32 v[6:7], v2
	v_mul_f64_e32 v[4:5], s[10:11], v[4:5]
	s_delay_alu instid0(VALU_DEP_2) | instskip(NEXT) | instid1(VALU_DEP_2)
	v_mul_f64_e32 v[6:7], s[10:11], v[6:7]
	v_and_or_b32 v2, 0x1ff, v5, v4
	s_delay_alu instid0(VALU_DEP_2)
	v_and_or_b32 v6, 0x1ff, v7, v6
	v_lshrrev_b32_e32 v4, 8, v5
	v_bfe_u32 v8, v5, 20, 11
	v_lshrrev_b32_e32 v9, 8, v7
	v_cmp_ne_u32_e32 vcc_lo, 0, v2
	v_bfe_u32 v10, v7, 20, 11
	v_lshrrev_b32_e32 v5, 16, v5
	v_sub_nc_u32_e32 v11, 0x3f1, v8
	v_add_nc_u32_e32 v8, 0xfffffc10, v8
	s_wait_alu 0xfffd
	v_cndmask_b32_e64 v2, 0, 1, vcc_lo
	v_cmp_ne_u32_e32 vcc_lo, 0, v6
	v_lshrrev_b32_e32 v7, 16, v7
	s_delay_alu instid0(VALU_DEP_3) | instskip(SKIP_4) | instid1(VALU_DEP_3)
	v_and_or_b32 v2, 0xffe, v4, v2
	s_wait_alu 0xfffd
	v_cndmask_b32_e64 v6, 0, 1, vcc_lo
	v_sub_nc_u32_e32 v4, 0x3f1, v10
	v_add_nc_u32_e32 v10, 0xfffffc10, v10
	v_and_or_b32 v6, 0xffe, v9, v6
	v_med3_i32 v9, v11, 0, 13
	v_or_b32_e32 v11, 0x1000, v2
	v_med3_i32 v4, v4, 0, 13
	s_delay_alu instid0(VALU_DEP_4) | instskip(NEXT) | instid1(VALU_DEP_3)
	v_or_b32_e32 v12, 0x1000, v6
	v_lshrrev_b32_e32 v13, v9, v11
	s_delay_alu instid0(VALU_DEP_2) | instskip(NEXT) | instid1(VALU_DEP_2)
	v_lshrrev_b32_e32 v14, v4, v12
	v_lshlrev_b32_e32 v9, v9, v13
	s_delay_alu instid0(VALU_DEP_2) | instskip(NEXT) | instid1(VALU_DEP_2)
	v_lshlrev_b32_e32 v4, v4, v14
	v_cmp_ne_u32_e32 vcc_lo, v9, v11
	v_lshl_or_b32 v11, v8, 12, v2
	s_wait_alu 0xfffd
	v_cndmask_b32_e64 v9, 0, 1, vcc_lo
	v_cmp_ne_u32_e32 vcc_lo, v4, v12
	v_lshl_or_b32 v12, v10, 12, v6
	s_delay_alu instid0(VALU_DEP_3) | instskip(SKIP_3) | instid1(VALU_DEP_2)
	v_or_b32_e32 v9, v13, v9
	s_wait_alu 0xfffd
	v_cndmask_b32_e64 v4, 0, 1, vcc_lo
	v_cmp_gt_i32_e32 vcc_lo, 1, v8
	v_or_b32_e32 v4, v14, v4
	s_wait_alu 0xfffd
	v_cndmask_b32_e32 v9, v11, v9, vcc_lo
	v_cmp_gt_i32_e32 vcc_lo, 1, v10
	s_wait_alu 0xfffd
	s_delay_alu instid0(VALU_DEP_2) | instskip(SKIP_2) | instid1(VALU_DEP_3)
	v_dual_cndmask_b32 v4, v12, v4 :: v_dual_and_b32 v11, 7, v9
	v_cmp_ne_u32_e32 vcc_lo, 0, v2
	v_lshrrev_b32_e32 v9, 2, v9
	v_cmp_eq_u32_e64 s0, 3, v11
	s_delay_alu instid0(VALU_DEP_4)
	v_and_b32_e32 v12, 7, v4
	s_wait_alu 0xfffd
	v_cndmask_b32_e64 v2, 0, 1, vcc_lo
	v_cmp_ne_u32_e32 vcc_lo, 0, v6
	v_lshrrev_b32_e32 v4, 2, v4
	v_cmp_lt_i32_e64 s1, 5, v12
	v_cmp_eq_u32_e64 s2, 3, v12
	s_wait_alu 0xfffd
	v_cndmask_b32_e64 v6, 0, 1, vcc_lo
	v_cmp_lt_i32_e32 vcc_lo, 5, v11
	v_lshl_or_b32 v2, v2, 9, 0x7c00
	s_delay_alu instid0(VALU_DEP_3)
	v_lshl_or_b32 v6, v6, 9, 0x7c00
	s_or_b32 vcc_lo, s0, vcc_lo
	s_wait_alu 0xfffe
	v_add_co_ci_u32_e32 v9, vcc_lo, 0, v9, vcc_lo
	s_or_b32 vcc_lo, s2, s1
	s_wait_alu 0xfffe
	v_add_co_ci_u32_e32 v4, vcc_lo, 0, v4, vcc_lo
	v_cmp_gt_i32_e32 vcc_lo, 31, v8
	s_wait_alu 0xfffd
	v_cndmask_b32_e32 v9, 0x7c00, v9, vcc_lo
	v_cmp_gt_i32_e32 vcc_lo, 31, v10
	s_wait_alu 0xfffd
	v_cndmask_b32_e32 v4, 0x7c00, v4, vcc_lo
	v_cmp_eq_u32_e32 vcc_lo, 0x40f, v8
	s_wait_alu 0xfffd
	v_cndmask_b32_e32 v2, v9, v2, vcc_lo
	v_cmp_eq_u32_e32 vcc_lo, 0x40f, v10
	s_delay_alu instid0(VALU_DEP_2)
	v_and_or_b32 v2, 0x8000, v5, v2
	s_wait_alu 0xfffd
	v_cndmask_b32_e32 v4, v4, v6, vcc_lo
	v_add_co_u32 v0, vcc_lo, v0, s4
	s_wait_alu 0xfffd
	v_add_co_ci_u32_e32 v1, vcc_lo, s5, v1, vcc_lo
	s_delay_alu instid0(VALU_DEP_3) | instskip(SKIP_1) | instid1(VALU_DEP_1)
	v_and_or_b32 v4, 0x8000, v7, v4
	v_and_b32_e32 v2, 0xffff, v2
	v_lshl_or_b32 v2, v4, 16, v2
	v_lshrrev_b32_e32 v4, 16, v3
	global_store_b32 v[0:1], v2, off
	global_load_b32 v2, v51, s[8:9] offset:4800
	s_wait_loadcnt 0x0
	v_lshrrev_b32_e32 v5, 16, v2
	s_delay_alu instid0(VALU_DEP_1) | instskip(SKIP_1) | instid1(VALU_DEP_2)
	v_mul_f16_e32 v6, v4, v5
	v_mul_f16_e32 v5, v3, v5
	v_fmac_f16_e32 v6, v3, v2
	s_delay_alu instid0(VALU_DEP_2) | instskip(NEXT) | instid1(VALU_DEP_2)
	v_fma_f16 v2, v2, v4, -v5
	v_cvt_f32_f16_e32 v3, v6
	s_delay_alu instid0(VALU_DEP_2) | instskip(NEXT) | instid1(VALU_DEP_2)
	v_cvt_f32_f16_e32 v4, v2
	v_cvt_f64_f32_e32 v[2:3], v3
	s_delay_alu instid0(VALU_DEP_2) | instskip(NEXT) | instid1(VALU_DEP_2)
	v_cvt_f64_f32_e32 v[4:5], v4
	v_mul_f64_e32 v[2:3], s[10:11], v[2:3]
	s_delay_alu instid0(VALU_DEP_2) | instskip(NEXT) | instid1(VALU_DEP_2)
	v_mul_f64_e32 v[4:5], s[10:11], v[4:5]
	v_and_or_b32 v2, 0x1ff, v3, v2
	s_delay_alu instid0(VALU_DEP_2)
	v_and_or_b32 v4, 0x1ff, v5, v4
	v_lshrrev_b32_e32 v6, 8, v3
	v_bfe_u32 v7, v3, 20, 11
	v_lshrrev_b32_e32 v8, 8, v5
	v_cmp_ne_u32_e32 vcc_lo, 0, v2
	v_bfe_u32 v9, v5, 20, 11
	v_lshrrev_b32_e32 v3, 16, v3
	v_sub_nc_u32_e32 v10, 0x3f1, v7
	v_add_nc_u32_e32 v7, 0xfffffc10, v7
	s_wait_alu 0xfffd
	v_cndmask_b32_e64 v2, 0, 1, vcc_lo
	v_cmp_ne_u32_e32 vcc_lo, 0, v4
	v_lshrrev_b32_e32 v5, 16, v5
	s_delay_alu instid0(VALU_DEP_3) | instskip(SKIP_4) | instid1(VALU_DEP_3)
	v_and_or_b32 v2, 0xffe, v6, v2
	s_wait_alu 0xfffd
	v_cndmask_b32_e64 v4, 0, 1, vcc_lo
	v_sub_nc_u32_e32 v6, 0x3f1, v9
	v_add_nc_u32_e32 v9, 0xfffffc10, v9
	v_and_or_b32 v4, 0xffe, v8, v4
	v_med3_i32 v8, v10, 0, 13
	v_or_b32_e32 v10, 0x1000, v2
	v_med3_i32 v6, v6, 0, 13
	s_delay_alu instid0(VALU_DEP_4) | instskip(NEXT) | instid1(VALU_DEP_3)
	v_or_b32_e32 v11, 0x1000, v4
	v_lshrrev_b32_e32 v12, v8, v10
	s_delay_alu instid0(VALU_DEP_2) | instskip(NEXT) | instid1(VALU_DEP_2)
	v_lshrrev_b32_e32 v13, v6, v11
	v_lshlrev_b32_e32 v8, v8, v12
	s_delay_alu instid0(VALU_DEP_2) | instskip(NEXT) | instid1(VALU_DEP_2)
	v_lshlrev_b32_e32 v6, v6, v13
	v_cmp_ne_u32_e32 vcc_lo, v8, v10
	v_lshl_or_b32 v10, v7, 12, v2
	s_wait_alu 0xfffd
	v_cndmask_b32_e64 v8, 0, 1, vcc_lo
	v_cmp_ne_u32_e32 vcc_lo, v6, v11
	v_lshl_or_b32 v11, v9, 12, v4
	s_delay_alu instid0(VALU_DEP_3) | instskip(SKIP_3) | instid1(VALU_DEP_2)
	v_or_b32_e32 v8, v12, v8
	s_wait_alu 0xfffd
	v_cndmask_b32_e64 v6, 0, 1, vcc_lo
	v_cmp_gt_i32_e32 vcc_lo, 1, v7
	v_or_b32_e32 v6, v13, v6
	s_wait_alu 0xfffd
	v_cndmask_b32_e32 v8, v10, v8, vcc_lo
	v_cmp_gt_i32_e32 vcc_lo, 1, v9
	s_delay_alu instid0(VALU_DEP_2)
	v_and_b32_e32 v10, 7, v8
	s_wait_alu 0xfffd
	v_cndmask_b32_e32 v6, v11, v6, vcc_lo
	v_cmp_ne_u32_e32 vcc_lo, 0, v2
	v_lshrrev_b32_e32 v8, 2, v8
	v_cmp_eq_u32_e64 s0, 3, v10
	s_delay_alu instid0(VALU_DEP_4)
	v_and_b32_e32 v11, 7, v6
	s_wait_alu 0xfffd
	v_cndmask_b32_e64 v2, 0, 1, vcc_lo
	v_cmp_ne_u32_e32 vcc_lo, 0, v4
	v_lshrrev_b32_e32 v6, 2, v6
	v_cmp_lt_i32_e64 s1, 5, v11
	v_cmp_eq_u32_e64 s2, 3, v11
	s_wait_alu 0xfffd
	v_cndmask_b32_e64 v4, 0, 1, vcc_lo
	v_cmp_lt_i32_e32 vcc_lo, 5, v10
	v_lshl_or_b32 v2, v2, 9, 0x7c00
	s_delay_alu instid0(VALU_DEP_3)
	v_lshl_or_b32 v4, v4, 9, 0x7c00
	s_or_b32 vcc_lo, s0, vcc_lo
	s_wait_alu 0xfffe
	v_add_co_ci_u32_e32 v8, vcc_lo, 0, v8, vcc_lo
	s_or_b32 vcc_lo, s2, s1
	s_wait_alu 0xfffe
	v_add_co_ci_u32_e32 v6, vcc_lo, 0, v6, vcc_lo
	v_cmp_gt_i32_e32 vcc_lo, 31, v7
	s_wait_alu 0xfffd
	v_cndmask_b32_e32 v8, 0x7c00, v8, vcc_lo
	v_cmp_gt_i32_e32 vcc_lo, 31, v9
	s_wait_alu 0xfffd
	v_cndmask_b32_e32 v6, 0x7c00, v6, vcc_lo
	v_cmp_eq_u32_e32 vcc_lo, 0x40f, v7
	s_wait_alu 0xfffd
	v_cndmask_b32_e32 v2, v8, v2, vcc_lo
	v_cmp_eq_u32_e32 vcc_lo, 0x40f, v9
	s_delay_alu instid0(VALU_DEP_2)
	v_and_or_b32 v2, 0x8000, v3, v2
	s_wait_alu 0xfffd
	v_cndmask_b32_e32 v4, v6, v4, vcc_lo
	v_add_co_u32 v0, vcc_lo, v0, s4
	s_wait_alu 0xfffd
	v_add_co_ci_u32_e32 v1, vcc_lo, s5, v1, vcc_lo
	s_delay_alu instid0(VALU_DEP_3) | instskip(SKIP_1) | instid1(VALU_DEP_1)
	v_and_or_b32 v3, 0x8000, v5, v4
	v_and_b32_e32 v2, 0xffff, v2
	v_lshl_or_b32 v2, v3, 16, v2
	global_store_b32 v[0:1], v2, off
.LBB0_15:
	s_nop 0
	s_sendmsg sendmsg(MSG_DEALLOC_VGPRS)
	s_endpgm
	.section	.rodata,"a",@progbits
	.p2align	6, 0x0
	.amdhsa_kernel bluestein_single_back_len1275_dim1_half_op_CI_CI
		.amdhsa_group_segment_fixed_size 15300
		.amdhsa_private_segment_fixed_size 0
		.amdhsa_kernarg_size 104
		.amdhsa_user_sgpr_count 2
		.amdhsa_user_sgpr_dispatch_ptr 0
		.amdhsa_user_sgpr_queue_ptr 0
		.amdhsa_user_sgpr_kernarg_segment_ptr 1
		.amdhsa_user_sgpr_dispatch_id 0
		.amdhsa_user_sgpr_private_segment_size 0
		.amdhsa_wavefront_size32 1
		.amdhsa_uses_dynamic_stack 0
		.amdhsa_enable_private_segment 0
		.amdhsa_system_sgpr_workgroup_id_x 1
		.amdhsa_system_sgpr_workgroup_id_y 0
		.amdhsa_system_sgpr_workgroup_id_z 0
		.amdhsa_system_sgpr_workgroup_info 0
		.amdhsa_system_vgpr_workitem_id 0
		.amdhsa_next_free_vgpr 238
		.amdhsa_next_free_sgpr 14
		.amdhsa_reserve_vcc 1
		.amdhsa_float_round_mode_32 0
		.amdhsa_float_round_mode_16_64 0
		.amdhsa_float_denorm_mode_32 3
		.amdhsa_float_denorm_mode_16_64 3
		.amdhsa_fp16_overflow 0
		.amdhsa_workgroup_processor_mode 1
		.amdhsa_memory_ordered 1
		.amdhsa_forward_progress 0
		.amdhsa_round_robin_scheduling 0
		.amdhsa_exception_fp_ieee_invalid_op 0
		.amdhsa_exception_fp_denorm_src 0
		.amdhsa_exception_fp_ieee_div_zero 0
		.amdhsa_exception_fp_ieee_overflow 0
		.amdhsa_exception_fp_ieee_underflow 0
		.amdhsa_exception_fp_ieee_inexact 0
		.amdhsa_exception_int_div_zero 0
	.end_amdhsa_kernel
	.text
.Lfunc_end0:
	.size	bluestein_single_back_len1275_dim1_half_op_CI_CI, .Lfunc_end0-bluestein_single_back_len1275_dim1_half_op_CI_CI
                                        ; -- End function
	.section	.AMDGPU.csdata,"",@progbits
; Kernel info:
; codeLenInByte = 38808
; NumSgprs: 16
; NumVgprs: 238
; ScratchSize: 0
; MemoryBound: 0
; FloatMode: 240
; IeeeMode: 1
; LDSByteSize: 15300 bytes/workgroup (compile time only)
; SGPRBlocks: 1
; VGPRBlocks: 29
; NumSGPRsForWavesPerEU: 16
; NumVGPRsForWavesPerEU: 238
; Occupancy: 6
; WaveLimiterHint : 1
; COMPUTE_PGM_RSRC2:SCRATCH_EN: 0
; COMPUTE_PGM_RSRC2:USER_SGPR: 2
; COMPUTE_PGM_RSRC2:TRAP_HANDLER: 0
; COMPUTE_PGM_RSRC2:TGID_X_EN: 1
; COMPUTE_PGM_RSRC2:TGID_Y_EN: 0
; COMPUTE_PGM_RSRC2:TGID_Z_EN: 0
; COMPUTE_PGM_RSRC2:TIDIG_COMP_CNT: 0
	.text
	.p2alignl 7, 3214868480
	.fill 96, 4, 3214868480
	.type	__hip_cuid_473e8f42b955ed29,@object ; @__hip_cuid_473e8f42b955ed29
	.section	.bss,"aw",@nobits
	.globl	__hip_cuid_473e8f42b955ed29
__hip_cuid_473e8f42b955ed29:
	.byte	0                               ; 0x0
	.size	__hip_cuid_473e8f42b955ed29, 1

	.ident	"AMD clang version 19.0.0git (https://github.com/RadeonOpenCompute/llvm-project roc-6.4.0 25133 c7fe45cf4b819c5991fe208aaa96edf142730f1d)"
	.section	".note.GNU-stack","",@progbits
	.addrsig
	.addrsig_sym __hip_cuid_473e8f42b955ed29
	.amdgpu_metadata
---
amdhsa.kernels:
  - .args:
      - .actual_access:  read_only
        .address_space:  global
        .offset:         0
        .size:           8
        .value_kind:     global_buffer
      - .actual_access:  read_only
        .address_space:  global
        .offset:         8
        .size:           8
        .value_kind:     global_buffer
      - .actual_access:  read_only
        .address_space:  global
        .offset:         16
        .size:           8
        .value_kind:     global_buffer
      - .actual_access:  read_only
        .address_space:  global
        .offset:         24
        .size:           8
        .value_kind:     global_buffer
      - .actual_access:  read_only
        .address_space:  global
        .offset:         32
        .size:           8
        .value_kind:     global_buffer
      - .offset:         40
        .size:           8
        .value_kind:     by_value
      - .address_space:  global
        .offset:         48
        .size:           8
        .value_kind:     global_buffer
      - .address_space:  global
        .offset:         56
        .size:           8
        .value_kind:     global_buffer
      - .address_space:  global
        .offset:         64
        .size:           8
        .value_kind:     global_buffer
      - .address_space:  global
        .offset:         72
        .size:           8
        .value_kind:     global_buffer
      - .offset:         80
        .size:           4
        .value_kind:     by_value
      - .address_space:  global
        .offset:         88
        .size:           8
        .value_kind:     global_buffer
      - .address_space:  global
        .offset:         96
        .size:           8
        .value_kind:     global_buffer
    .group_segment_fixed_size: 15300
    .kernarg_segment_align: 8
    .kernarg_segment_size: 104
    .language:       OpenCL C
    .language_version:
      - 2
      - 0
    .max_flat_workgroup_size: 255
    .name:           bluestein_single_back_len1275_dim1_half_op_CI_CI
    .private_segment_fixed_size: 0
    .sgpr_count:     16
    .sgpr_spill_count: 0
    .symbol:         bluestein_single_back_len1275_dim1_half_op_CI_CI.kd
    .uniform_work_group_size: 1
    .uses_dynamic_stack: false
    .vgpr_count:     238
    .vgpr_spill_count: 0
    .wavefront_size: 32
    .workgroup_processor_mode: 1
amdhsa.target:   amdgcn-amd-amdhsa--gfx1201
amdhsa.version:
  - 1
  - 2
...

	.end_amdgpu_metadata
